;; amdgpu-corpus repo=ROCm/rocFFT kind=compiled arch=gfx906 opt=O3
	.text
	.amdgcn_target "amdgcn-amd-amdhsa--gfx906"
	.amdhsa_code_object_version 6
	.protected	bluestein_single_back_len3240_dim1_dp_op_CI_CI ; -- Begin function bluestein_single_back_len3240_dim1_dp_op_CI_CI
	.globl	bluestein_single_back_len3240_dim1_dp_op_CI_CI
	.p2align	8
	.type	bluestein_single_back_len3240_dim1_dp_op_CI_CI,@function
bluestein_single_back_len3240_dim1_dp_op_CI_CI: ; @bluestein_single_back_len3240_dim1_dp_op_CI_CI
; %bb.0:
	s_load_dwordx4 s[12:15], s[4:5], 0x28
	s_mov_b64 s[38:39], s[2:3]
	v_mul_u32_u24_e32 v3, 0x25f, v0
	s_mov_b64 s[36:37], s[0:1]
	v_add_u32_sdwa v1, s6, v3 dst_sel:DWORD dst_unused:UNUSED_PAD src0_sel:DWORD src1_sel:WORD_1
	v_mov_b32_e32 v2, 0
	s_add_u32 s36, s36, s7
	s_waitcnt lgkmcnt(0)
	v_cmp_gt_u64_e32 vcc, s[12:13], v[1:2]
	s_addc_u32 s37, s37, 0
	s_and_saveexec_b64 s[0:1], vcc
	s_cbranch_execz .LBB0_2
; %bb.1:
	s_load_dwordx4 s[8:11], s[4:5], 0x0
	s_load_dwordx4 s[20:23], s[4:5], 0x18
	s_load_dwordx2 s[12:13], s[4:5], 0x38
	s_movk_i32 s16, 0x6c
	v_mul_lo_u16_sdwa v2, v3, s16 dst_sel:DWORD dst_unused:UNUSED_PAD src0_sel:WORD_1 src1_sel:DWORD
	v_sub_u16_e32 v157, v0, v2
	s_waitcnt lgkmcnt(0)
	s_load_dwordx4 s[0:3], s[22:23], 0x0
	v_lshlrev_b32_e32 v120, 4, v157
	s_movk_i32 s27, 0x4000
	s_mov_b32 s26, 0x8000
	s_mov_b32 s28, 0xa000
	s_waitcnt lgkmcnt(0)
	v_mad_u64_u32 v[4:5], s[4:5], s2, v1, 0
	s_movk_i32 s31, 0x21c
	s_movk_i32 s30, 0x2000
	v_mov_b32_e32 v0, v5
	v_mad_u64_u32 v[2:3], s[2:3], s3, v1, v[0:1]
	s_movk_i32 s29, 0x6000
	v_mov_b32_e32 v162, 57
	v_mov_b32_e32 v5, v2
	buffer_store_dword v4, off, s[36:39], 0 ; 4-byte Folded Spill
	s_nop 0
	buffer_store_dword v5, off, s[36:39], 0 offset:4 ; 4-byte Folded Spill
	global_load_dwordx4 v[10:13], v120, s[8:9]
	s_load_dwordx4 s[4:7], s[20:21], 0x0
                                        ; kill: killed $sgpr8_sgpr9
	v_mov_b32_e32 v175, v157
	s_mov_b32 s17, 0xbfee6f0e
	s_mov_b32 s19, 0xbfe2cf23
	;; [unrolled: 1-line block ×3, first 2 shown]
	s_waitcnt lgkmcnt(0)
	v_mad_u64_u32 v[2:3], s[2:3], s6, v1, 0
	s_mul_hi_u32 s6, s4, 0xffff7fc0
	s_sub_i32 s6, s6, s4
	v_mov_b32_e32 v0, v3
	v_mad_u64_u32 v[0:1], s[2:3], s7, v1, v[0:1]
	s_mov_b32 s21, 0x3fe9e377
	s_mov_b32 s23, 0xbfd3c6ef
	v_mov_b32_e32 v3, v0
	v_mad_u64_u32 v[0:1], s[2:3], s4, v157, 0
	s_mov_b32 s25, 0xbfe9e377
	s_mov_b32 s24, s20
	v_mad_u64_u32 v[4:5], s[2:3], s5, v157, v[1:2]
	v_lshlrev_b64 v[2:3], 4, v[2:3]
	s_mul_i32 s2, s5, 0x4380
	v_mov_b32_e32 v1, v4
	v_add_co_u32_e32 v2, vcc, s14, v2
	v_mov_b32_e32 v4, s15
	v_lshlrev_b64 v[0:1], 4, v[0:1]
	v_addc_co_u32_e32 v3, vcc, v4, v3, vcc
	v_add_co_u32_e32 v8, vcc, v2, v0
	v_addc_co_u32_e32 v9, vcc, v3, v1, vcc
	global_load_dwordx4 v[0:3], v[8:9], off
	v_add_co_u32_e32 v158, vcc, s8, v120
	v_mov_b32_e32 v4, s9
	v_addc_co_u32_e32 v163, vcc, 0, v4, vcc
	s_mul_hi_u32 s3, s4, 0x4380
	s_add_i32 s2, s3, s2
	s_mul_i32 s3, s4, 0x4380
	v_add_co_u32_e32 v8, vcc, s3, v8
	s_mul_i32 s5, s5, 0xffff7fc0
	s_add_i32 s5, s6, s5
	s_mul_i32 s4, s4, 0xffff7fc0
	s_movk_i32 s6, 0xd8
	s_mov_b32 s14, 0x372fe950
	s_mov_b32 s15, 0x3fd3c6ef
	;; [unrolled: 1-line block ×3, first 2 shown]
	s_movk_i32 s33, 0xb7
	s_waitcnt vmcnt(1)
	buffer_store_dword v10, off, s[36:39], 0 offset:24 ; 4-byte Folded Spill
	s_nop 0
	buffer_store_dword v11, off, s[36:39], 0 offset:28 ; 4-byte Folded Spill
	buffer_store_dword v12, off, s[36:39], 0 offset:32 ; 4-byte Folded Spill
	;; [unrolled: 1-line block ×3, first 2 shown]
	s_waitcnt vmcnt(4)
	v_mul_f64 v[4:5], v[2:3], v[12:13]
	v_fma_f64 v[4:5], v[0:1], v[10:11], v[4:5]
	v_mul_f64 v[0:1], v[0:1], v[12:13]
	v_fma_f64 v[6:7], v[2:3], v[10:11], -v[0:1]
	v_mov_b32_e32 v0, s2
	v_addc_co_u32_e32 v9, vcc, v9, v0, vcc
	v_add_co_u32_e32 v10, vcc, s27, v158
	v_addc_co_u32_e32 v11, vcc, 0, v163, vcc
	global_load_dwordx4 v[12:15], v[10:11], off offset:896
	global_load_dwordx4 v[0:3], v[8:9], off
	ds_write_b128 v120, v[4:7]
                                        ; kill: killed $vgpr10 killed $vgpr11
	s_waitcnt vmcnt(1)
	buffer_store_dword v12, off, s[36:39], 0 offset:40 ; 4-byte Folded Spill
	s_nop 0
	buffer_store_dword v13, off, s[36:39], 0 offset:44 ; 4-byte Folded Spill
	buffer_store_dword v14, off, s[36:39], 0 offset:48 ; 4-byte Folded Spill
	;; [unrolled: 1-line block ×3, first 2 shown]
	s_waitcnt vmcnt(4)
	v_mul_f64 v[4:5], v[2:3], v[14:15]
	v_fma_f64 v[4:5], v[0:1], v[12:13], v[4:5]
	v_mul_f64 v[0:1], v[0:1], v[14:15]
	v_fma_f64 v[6:7], v[2:3], v[12:13], -v[0:1]
	v_add_co_u32_e32 v12, vcc, s3, v8
	v_mov_b32_e32 v0, s2
	v_addc_co_u32_e32 v13, vcc, v9, v0, vcc
	v_add_co_u32_e32 v0, vcc, s26, v158
	v_addc_co_u32_e32 v1, vcc, 0, v163, vcc
	global_load_dwordx4 v[14:17], v[0:1], off offset:1792
	ds_write_b128 v120, v[4:7] offset:17280
	global_load_dwordx4 v[2:5], v[12:13], off
	v_add_co_u32_e32 v121, vcc, s16, v157
	v_add_co_u32_e32 v12, vcc, s4, v12
	s_waitcnt vmcnt(1)
	buffer_store_dword v14, off, s[36:39], 0 offset:56 ; 4-byte Folded Spill
	s_nop 0
	buffer_store_dword v15, off, s[36:39], 0 offset:60 ; 4-byte Folded Spill
	buffer_store_dword v16, off, s[36:39], 0 offset:64 ; 4-byte Folded Spill
	;; [unrolled: 1-line block ×3, first 2 shown]
	s_waitcnt vmcnt(4)
	v_mul_f64 v[6:7], v[4:5], v[16:17]
	v_fma_f64 v[6:7], v[2:3], v[14:15], v[6:7]
	v_mul_f64 v[2:3], v[2:3], v[16:17]
	v_fma_f64 v[8:9], v[4:5], v[14:15], -v[2:3]
	v_mov_b32_e32 v2, s5
	v_addc_co_u32_e32 v13, vcc, v13, v2, vcc
	ds_write_b128 v120, v[6:9] offset:34560
	global_load_dwordx4 v[2:5], v[12:13], off
	global_load_dwordx4 v[14:17], v120, s[8:9] offset:1728
	v_add_co_u32_e32 v12, vcc, s3, v12
	s_waitcnt vmcnt(0)
	buffer_store_dword v14, off, s[36:39], 0 offset:72 ; 4-byte Folded Spill
	s_nop 0
	buffer_store_dword v15, off, s[36:39], 0 offset:76 ; 4-byte Folded Spill
	buffer_store_dword v16, off, s[36:39], 0 offset:80 ; 4-byte Folded Spill
	;; [unrolled: 1-line block ×3, first 2 shown]
	v_mul_f64 v[6:7], v[4:5], v[16:17]
	v_fma_f64 v[6:7], v[2:3], v[14:15], v[6:7]
	v_mul_f64 v[2:3], v[2:3], v[16:17]
	v_fma_f64 v[8:9], v[4:5], v[14:15], -v[2:3]
	v_mov_b32_e32 v2, s2
	v_addc_co_u32_e32 v13, vcc, v13, v2, vcc
	ds_write_b128 v120, v[6:9] offset:1728
	global_load_dwordx4 v[2:5], v[12:13], off
	global_load_dwordx4 v[14:17], v[10:11], off offset:2624
	v_add_co_u32_e32 v10, vcc, s3, v12
	s_waitcnt vmcnt(0)
	buffer_store_dword v14, off, s[36:39], 0 offset:88 ; 4-byte Folded Spill
	s_nop 0
	buffer_store_dword v15, off, s[36:39], 0 offset:92 ; 4-byte Folded Spill
	buffer_store_dword v16, off, s[36:39], 0 offset:96 ; 4-byte Folded Spill
	buffer_store_dword v17, off, s[36:39], 0 offset:100 ; 4-byte Folded Spill
	v_mul_f64 v[6:7], v[4:5], v[16:17]
	v_fma_f64 v[6:7], v[2:3], v[14:15], v[6:7]
	v_mul_f64 v[2:3], v[2:3], v[16:17]
	v_fma_f64 v[8:9], v[4:5], v[14:15], -v[2:3]
	v_mov_b32_e32 v2, s2
	v_addc_co_u32_e32 v11, vcc, v13, v2, vcc
	v_add_co_u32_e32 v161, vcc, s6, v157
	s_movk_i32 s6, 0x5000
	ds_write_b128 v120, v[6:9] offset:19008
	global_load_dwordx4 v[2:5], v[10:11], off
	global_load_dwordx4 v[12:15], v[0:1], off offset:3520
	v_add_co_u32_e32 v10, vcc, s4, v10
	s_waitcnt vmcnt(0)
	buffer_store_dword v12, off, s[36:39], 0 offset:104 ; 4-byte Folded Spill
	s_nop 0
	buffer_store_dword v13, off, s[36:39], 0 offset:108 ; 4-byte Folded Spill
	buffer_store_dword v14, off, s[36:39], 0 offset:112 ; 4-byte Folded Spill
	;; [unrolled: 1-line block ×3, first 2 shown]
	v_mul_f64 v[6:7], v[4:5], v[14:15]
	v_fma_f64 v[6:7], v[2:3], v[12:13], v[6:7]
	v_mul_f64 v[2:3], v[2:3], v[14:15]
	v_fma_f64 v[8:9], v[4:5], v[12:13], -v[2:3]
	v_mov_b32_e32 v2, s5
	v_addc_co_u32_e32 v11, vcc, v11, v2, vcc
	ds_write_b128 v120, v[6:9] offset:36288
	global_load_dwordx4 v[2:5], v[10:11], off
	global_load_dwordx4 v[12:15], v120, s[8:9] offset:3456
	v_add_co_u32_e32 v10, vcc, s3, v10
	s_movk_i32 s8, 0x90
	s_waitcnt vmcnt(0)
	buffer_store_dword v12, off, s[36:39], 0 offset:120 ; 4-byte Folded Spill
	s_nop 0
	buffer_store_dword v13, off, s[36:39], 0 offset:124 ; 4-byte Folded Spill
	buffer_store_dword v14, off, s[36:39], 0 offset:128 ; 4-byte Folded Spill
	;; [unrolled: 1-line block ×3, first 2 shown]
	v_mul_f64 v[6:7], v[4:5], v[14:15]
	v_fma_f64 v[6:7], v[2:3], v[12:13], v[6:7]
	v_mul_f64 v[2:3], v[2:3], v[14:15]
	v_fma_f64 v[8:9], v[4:5], v[12:13], -v[2:3]
	v_mov_b32_e32 v2, s2
	v_addc_co_u32_e32 v11, vcc, v11, v2, vcc
	v_add_co_u32_e32 v12, vcc, s6, v158
	v_addc_co_u32_e32 v13, vcc, 0, v163, vcc
	global_load_dwordx4 v[14:17], v[12:13], off offset:256
	global_load_dwordx4 v[2:5], v[10:11], off
	ds_write_b128 v120, v[6:9] offset:3456
	v_add_co_u32_e32 v10, vcc, s3, v10
	s_mov_b32 s6, 0x9000
                                        ; kill: killed $vgpr12 killed $vgpr13
	s_waitcnt vmcnt(1)
	buffer_store_dword v14, off, s[36:39], 0 offset:136 ; 4-byte Folded Spill
	s_nop 0
	buffer_store_dword v15, off, s[36:39], 0 offset:140 ; 4-byte Folded Spill
	buffer_store_dword v16, off, s[36:39], 0 offset:144 ; 4-byte Folded Spill
	;; [unrolled: 1-line block ×3, first 2 shown]
	s_waitcnt vmcnt(4)
	v_mul_f64 v[6:7], v[4:5], v[16:17]
	v_fma_f64 v[6:7], v[2:3], v[14:15], v[6:7]
	v_mul_f64 v[2:3], v[2:3], v[16:17]
	v_fma_f64 v[8:9], v[4:5], v[14:15], -v[2:3]
	v_mov_b32_e32 v2, s2
	v_addc_co_u32_e32 v11, vcc, v11, v2, vcc
	v_add_co_u32_e32 v14, vcc, s6, v158
	v_addc_co_u32_e32 v15, vcc, 0, v163, vcc
	global_load_dwordx4 v[16:19], v[14:15], off offset:1152
	global_load_dwordx4 v[2:5], v[10:11], off
	ds_write_b128 v120, v[6:9] offset:20736
	s_movk_i32 s6, 0x144
	v_add_co_u32_e32 v174, vcc, s6, v157
	v_add_co_u32_e32 v10, vcc, s4, v10
	s_movk_i32 s6, 0x1000
                                        ; kill: killed $vgpr14 killed $vgpr15
	s_waitcnt vmcnt(1)
	buffer_store_dword v16, off, s[36:39], 0 offset:152 ; 4-byte Folded Spill
	s_nop 0
	buffer_store_dword v17, off, s[36:39], 0 offset:156 ; 4-byte Folded Spill
	buffer_store_dword v18, off, s[36:39], 0 offset:160 ; 4-byte Folded Spill
	;; [unrolled: 1-line block ×3, first 2 shown]
	s_waitcnt vmcnt(4)
	v_mul_f64 v[6:7], v[4:5], v[18:19]
	v_fma_f64 v[6:7], v[2:3], v[16:17], v[6:7]
	v_mul_f64 v[2:3], v[2:3], v[18:19]
	v_fma_f64 v[8:9], v[4:5], v[16:17], -v[2:3]
	v_mov_b32_e32 v2, s5
	v_addc_co_u32_e32 v11, vcc, v11, v2, vcc
	v_add_co_u32_e32 v16, vcc, s6, v158
	v_addc_co_u32_e32 v17, vcc, 0, v163, vcc
	global_load_dwordx4 v[18:21], v[16:17], off offset:1088
	global_load_dwordx4 v[2:5], v[10:11], off
	ds_write_b128 v120, v[6:9] offset:38016
	v_add_co_u32_e32 v10, vcc, s3, v10
	s_movk_i32 s6, 0x1b0
                                        ; kill: killed $vgpr16 killed $vgpr17
	s_waitcnt vmcnt(1)
	buffer_store_dword v18, off, s[36:39], 0 offset:200 ; 4-byte Folded Spill
	s_nop 0
	buffer_store_dword v19, off, s[36:39], 0 offset:204 ; 4-byte Folded Spill
	buffer_store_dword v20, off, s[36:39], 0 offset:208 ; 4-byte Folded Spill
	;; [unrolled: 1-line block ×3, first 2 shown]
	s_waitcnt vmcnt(4)
	v_mul_f64 v[6:7], v[4:5], v[20:21]
	v_fma_f64 v[6:7], v[2:3], v[18:19], v[6:7]
	v_mul_f64 v[2:3], v[2:3], v[20:21]
	v_fma_f64 v[8:9], v[4:5], v[18:19], -v[2:3]
	v_mov_b32_e32 v2, s2
	v_addc_co_u32_e32 v11, vcc, v11, v2, vcc
	ds_write_b128 v120, v[6:9] offset:5184
	global_load_dwordx4 v[2:5], v[10:11], off
	global_load_dwordx4 v[18:21], v[12:13], off offset:1984
	v_add_co_u32_e32 v10, vcc, s3, v10
	s_waitcnt vmcnt(0)
	buffer_store_dword v18, off, s[36:39], 0 offset:232 ; 4-byte Folded Spill
	s_nop 0
	buffer_store_dword v19, off, s[36:39], 0 offset:236 ; 4-byte Folded Spill
	buffer_store_dword v20, off, s[36:39], 0 offset:240 ; 4-byte Folded Spill
	;; [unrolled: 1-line block ×3, first 2 shown]
	v_mul_f64 v[6:7], v[4:5], v[20:21]
	v_fma_f64 v[6:7], v[2:3], v[18:19], v[6:7]
	v_mul_f64 v[2:3], v[2:3], v[20:21]
	v_fma_f64 v[8:9], v[4:5], v[18:19], -v[2:3]
	v_mov_b32_e32 v2, s2
	v_addc_co_u32_e32 v11, vcc, v11, v2, vcc
	v_add_co_u32_e32 v164, vcc, s6, v157
	s_movk_i32 s6, 0x288
	ds_write_b128 v120, v[6:9] offset:22464
	global_load_dwordx4 v[2:5], v[10:11], off
	global_load_dwordx4 v[18:21], v[14:15], off offset:2880
	v_add_co_u32_e32 v10, vcc, s4, v10
	s_waitcnt vmcnt(0)
	buffer_store_dword v18, off, s[36:39], 0 offset:280 ; 4-byte Folded Spill
	s_nop 0
	buffer_store_dword v19, off, s[36:39], 0 offset:284 ; 4-byte Folded Spill
	buffer_store_dword v20, off, s[36:39], 0 offset:288 ; 4-byte Folded Spill
	;; [unrolled: 1-line block ×3, first 2 shown]
	v_mul_f64 v[6:7], v[4:5], v[20:21]
	v_fma_f64 v[6:7], v[2:3], v[18:19], v[6:7]
	v_mul_f64 v[2:3], v[2:3], v[20:21]
	v_fma_f64 v[8:9], v[4:5], v[18:19], -v[2:3]
	v_mov_b32_e32 v2, s5
	v_addc_co_u32_e32 v11, vcc, v11, v2, vcc
	ds_write_b128 v120, v[6:9] offset:39744
	global_load_dwordx4 v[2:5], v[10:11], off
	global_load_dwordx4 v[18:21], v[16:17], off offset:2816
	v_add_co_u32_e32 v10, vcc, s3, v10
	s_waitcnt vmcnt(0)
	buffer_store_dword v18, off, s[36:39], 0 offset:328 ; 4-byte Folded Spill
	s_nop 0
	buffer_store_dword v19, off, s[36:39], 0 offset:332 ; 4-byte Folded Spill
	buffer_store_dword v20, off, s[36:39], 0 offset:336 ; 4-byte Folded Spill
	;; [unrolled: 1-line block ×3, first 2 shown]
	v_mul_f64 v[6:7], v[4:5], v[20:21]
	v_fma_f64 v[6:7], v[2:3], v[18:19], v[6:7]
	v_mul_f64 v[2:3], v[2:3], v[20:21]
	v_fma_f64 v[8:9], v[4:5], v[18:19], -v[2:3]
	v_mov_b32_e32 v2, s2
	v_addc_co_u32_e32 v11, vcc, v11, v2, vcc
	ds_write_b128 v120, v[6:9] offset:6912
	global_load_dwordx4 v[2:5], v[10:11], off
	global_load_dwordx4 v[6:9], v[12:13], off offset:3712
	v_add_co_u32_e32 v10, vcc, s3, v10
	s_waitcnt vmcnt(0)
	v_mov_b32_e32 v15, v9
	v_mov_b32_e32 v14, v8
	;; [unrolled: 1-line block ×4, first 2 shown]
	buffer_store_dword v12, off, s[36:39], 0 offset:456 ; 4-byte Folded Spill
	s_nop 0
	buffer_store_dword v13, off, s[36:39], 0 offset:460 ; 4-byte Folded Spill
	buffer_store_dword v14, off, s[36:39], 0 offset:464 ; 4-byte Folded Spill
	;; [unrolled: 1-line block ×3, first 2 shown]
	v_mul_f64 v[6:7], v[4:5], v[14:15]
	v_fma_f64 v[6:7], v[2:3], v[12:13], v[6:7]
	v_mul_f64 v[2:3], v[2:3], v[14:15]
	v_fma_f64 v[8:9], v[4:5], v[12:13], -v[2:3]
	v_mov_b32_e32 v2, s2
	v_addc_co_u32_e32 v11, vcc, v11, v2, vcc
	v_add_co_u32_e32 v12, vcc, s28, v158
	v_addc_co_u32_e32 v13, vcc, 0, v163, vcc
	global_load_dwordx4 v[14:17], v[12:13], off offset:512
	global_load_dwordx4 v[2:5], v[10:11], off
	ds_write_b128 v120, v[6:9] offset:24192
	v_add_co_u32_e32 v122, vcc, s31, v157
	v_add_co_u32_e32 v10, vcc, s4, v10
                                        ; kill: killed $vgpr12 killed $vgpr13
	s_waitcnt vmcnt(1)
	buffer_store_dword v14, off, s[36:39], 0 offset:440 ; 4-byte Folded Spill
	s_nop 0
	buffer_store_dword v15, off, s[36:39], 0 offset:444 ; 4-byte Folded Spill
	buffer_store_dword v16, off, s[36:39], 0 offset:448 ; 4-byte Folded Spill
	buffer_store_dword v17, off, s[36:39], 0 offset:452 ; 4-byte Folded Spill
	s_waitcnt vmcnt(4)
	v_mul_f64 v[6:7], v[4:5], v[16:17]
	v_fma_f64 v[6:7], v[2:3], v[14:15], v[6:7]
	v_mul_f64 v[2:3], v[2:3], v[16:17]
	v_fma_f64 v[8:9], v[4:5], v[14:15], -v[2:3]
	v_mov_b32_e32 v2, s5
	v_addc_co_u32_e32 v11, vcc, v11, v2, vcc
	v_add_co_u32_e32 v14, vcc, s30, v158
	v_addc_co_u32_e32 v15, vcc, 0, v163, vcc
	global_load_dwordx4 v[16:19], v[14:15], off offset:448
	global_load_dwordx4 v[2:5], v[10:11], off
	ds_write_b128 v120, v[6:9] offset:41472
	v_add_co_u32_e32 v10, vcc, s3, v10
                                        ; kill: killed $vgpr14 killed $vgpr15
	s_waitcnt vmcnt(1)
	buffer_store_dword v16, off, s[36:39], 0 offset:424 ; 4-byte Folded Spill
	s_nop 0
	buffer_store_dword v17, off, s[36:39], 0 offset:428 ; 4-byte Folded Spill
	buffer_store_dword v18, off, s[36:39], 0 offset:432 ; 4-byte Folded Spill
	;; [unrolled: 1-line block ×3, first 2 shown]
	s_waitcnt vmcnt(4)
	v_mul_f64 v[6:7], v[4:5], v[18:19]
	v_fma_f64 v[6:7], v[2:3], v[16:17], v[6:7]
	v_mul_f64 v[2:3], v[2:3], v[18:19]
	v_fma_f64 v[8:9], v[4:5], v[16:17], -v[2:3]
	v_mov_b32_e32 v2, s2
	v_addc_co_u32_e32 v11, vcc, v11, v2, vcc
	v_add_co_u32_e32 v16, vcc, s29, v158
	v_addc_co_u32_e32 v17, vcc, 0, v163, vcc
	global_load_dwordx4 v[18:21], v[16:17], off offset:1344
	global_load_dwordx4 v[2:5], v[10:11], off
	ds_write_b128 v120, v[6:9] offset:8640
	v_add_co_u32_e32 v10, vcc, s3, v10
                                        ; kill: killed $vgpr16 killed $vgpr17
	s_waitcnt vmcnt(1)
	buffer_store_dword v18, off, s[36:39], 0 offset:408 ; 4-byte Folded Spill
	s_nop 0
	buffer_store_dword v19, off, s[36:39], 0 offset:412 ; 4-byte Folded Spill
	buffer_store_dword v20, off, s[36:39], 0 offset:416 ; 4-byte Folded Spill
	;; [unrolled: 1-line block ×3, first 2 shown]
	s_waitcnt vmcnt(4)
	v_mul_f64 v[6:7], v[4:5], v[20:21]
	v_fma_f64 v[6:7], v[2:3], v[18:19], v[6:7]
	v_mul_f64 v[2:3], v[2:3], v[20:21]
	v_fma_f64 v[8:9], v[4:5], v[18:19], -v[2:3]
	v_mov_b32_e32 v2, s2
	v_addc_co_u32_e32 v11, vcc, v11, v2, vcc
	v_add_co_u32_e32 v123, vcc, s6, v157
	s_movk_i32 s6, 0x2f4
	ds_write_b128 v120, v[6:9] offset:25920
	global_load_dwordx4 v[2:5], v[10:11], off
	global_load_dwordx4 v[18:21], v[12:13], off offset:2240
	v_add_co_u32_e32 v10, vcc, s4, v10
	s_waitcnt vmcnt(0)
	buffer_store_dword v18, off, s[36:39], 0 offset:392 ; 4-byte Folded Spill
	s_nop 0
	buffer_store_dword v19, off, s[36:39], 0 offset:396 ; 4-byte Folded Spill
	buffer_store_dword v20, off, s[36:39], 0 offset:400 ; 4-byte Folded Spill
	buffer_store_dword v21, off, s[36:39], 0 offset:404 ; 4-byte Folded Spill
	v_mul_f64 v[6:7], v[4:5], v[20:21]
	v_fma_f64 v[6:7], v[2:3], v[18:19], v[6:7]
	v_mul_f64 v[2:3], v[2:3], v[20:21]
	v_fma_f64 v[8:9], v[4:5], v[18:19], -v[2:3]
	v_mov_b32_e32 v2, s5
	v_addc_co_u32_e32 v11, vcc, v11, v2, vcc
	ds_write_b128 v120, v[6:9] offset:43200
	global_load_dwordx4 v[2:5], v[10:11], off
	global_load_dwordx4 v[18:21], v[14:15], off offset:2176
	v_add_co_u32_e32 v10, vcc, s3, v10
	s_waitcnt vmcnt(0)
	buffer_store_dword v18, off, s[36:39], 0 offset:376 ; 4-byte Folded Spill
	s_nop 0
	buffer_store_dword v19, off, s[36:39], 0 offset:380 ; 4-byte Folded Spill
	buffer_store_dword v20, off, s[36:39], 0 offset:384 ; 4-byte Folded Spill
	buffer_store_dword v21, off, s[36:39], 0 offset:388 ; 4-byte Folded Spill
	v_mul_f64 v[6:7], v[4:5], v[20:21]
	v_fma_f64 v[6:7], v[2:3], v[18:19], v[6:7]
	v_mul_f64 v[2:3], v[2:3], v[20:21]
	v_fma_f64 v[8:9], v[4:5], v[18:19], -v[2:3]
	v_mov_b32_e32 v2, s2
	v_addc_co_u32_e32 v11, vcc, v11, v2, vcc
	;; [unrolled: 16-line block ×3, first 2 shown]
	v_add_co_u32_e32 v132, vcc, s6, v157
	s_movk_i32 s6, 0x7000
	ds_write_b128 v120, v[6:9] offset:27648
	global_load_dwordx4 v[2:5], v[10:11], off
	global_load_dwordx4 v[16:19], v[12:13], off offset:3968
	v_add_co_u32_e32 v10, vcc, s4, v10
	s_waitcnt vmcnt(0)
	buffer_store_dword v16, off, s[36:39], 0 offset:344 ; 4-byte Folded Spill
	s_nop 0
	buffer_store_dword v17, off, s[36:39], 0 offset:348 ; 4-byte Folded Spill
	buffer_store_dword v18, off, s[36:39], 0 offset:352 ; 4-byte Folded Spill
	;; [unrolled: 1-line block ×3, first 2 shown]
	v_mul_f64 v[6:7], v[4:5], v[18:19]
	v_fma_f64 v[6:7], v[2:3], v[16:17], v[6:7]
	v_mul_f64 v[2:3], v[2:3], v[18:19]
	v_fma_f64 v[8:9], v[4:5], v[16:17], -v[2:3]
	v_mov_b32_e32 v2, s5
	v_addc_co_u32_e32 v11, vcc, v11, v2, vcc
	ds_write_b128 v120, v[6:9] offset:44928
	global_load_dwordx4 v[2:5], v[10:11], off
	global_load_dwordx4 v[16:19], v[14:15], off offset:3904
	v_add_co_u32_e32 v10, vcc, s3, v10
	s_waitcnt vmcnt(0)
	buffer_store_dword v16, off, s[36:39], 0 offset:312 ; 4-byte Folded Spill
	s_nop 0
	buffer_store_dword v17, off, s[36:39], 0 offset:316 ; 4-byte Folded Spill
	buffer_store_dword v18, off, s[36:39], 0 offset:320 ; 4-byte Folded Spill
	;; [unrolled: 1-line block ×3, first 2 shown]
	v_mul_f64 v[6:7], v[4:5], v[18:19]
	v_fma_f64 v[6:7], v[2:3], v[16:17], v[6:7]
	v_mul_f64 v[2:3], v[2:3], v[18:19]
	v_fma_f64 v[8:9], v[4:5], v[16:17], -v[2:3]
	v_mov_b32_e32 v2, s2
	v_addc_co_u32_e32 v11, vcc, v11, v2, vcc
	v_add_co_u32_e32 v12, vcc, s6, v158
	v_addc_co_u32_e32 v13, vcc, 0, v163, vcc
	global_load_dwordx4 v[14:17], v[12:13], off offset:704
	global_load_dwordx4 v[2:5], v[10:11], off
	ds_write_b128 v120, v[6:9] offset:12096
	v_add_co_u32_e32 v10, vcc, s3, v10
	s_mov_b32 s6, 0xb000
	s_waitcnt vmcnt(1)
	buffer_store_dword v14, off, s[36:39], 0 offset:296 ; 4-byte Folded Spill
	s_nop 0
	buffer_store_dword v15, off, s[36:39], 0 offset:300 ; 4-byte Folded Spill
	buffer_store_dword v16, off, s[36:39], 0 offset:304 ; 4-byte Folded Spill
	;; [unrolled: 1-line block ×3, first 2 shown]
	s_waitcnt vmcnt(4)
	v_mul_f64 v[6:7], v[4:5], v[16:17]
	v_fma_f64 v[6:7], v[2:3], v[14:15], v[6:7]
	v_mul_f64 v[2:3], v[2:3], v[16:17]
	v_fma_f64 v[8:9], v[4:5], v[14:15], -v[2:3]
	v_mov_b32_e32 v2, s2
	v_addc_co_u32_e32 v11, vcc, v11, v2, vcc
	v_add_co_u32_e32 v14, vcc, s6, v158
	v_addc_co_u32_e32 v15, vcc, 0, v163, vcc
	global_load_dwordx4 v[16:19], v[14:15], off offset:1600
	global_load_dwordx4 v[2:5], v[10:11], off
	ds_write_b128 v120, v[6:9] offset:29376
	s_movk_i32 s6, 0x360
	v_add_co_u32_e32 v133, vcc, s6, v157
	v_add_co_u32_e32 v10, vcc, s4, v10
	s_movk_i32 s6, 0x3000
	s_waitcnt vmcnt(1)
	buffer_store_dword v16, off, s[36:39], 0 offset:264 ; 4-byte Folded Spill
	s_nop 0
	buffer_store_dword v17, off, s[36:39], 0 offset:268 ; 4-byte Folded Spill
	buffer_store_dword v18, off, s[36:39], 0 offset:272 ; 4-byte Folded Spill
	buffer_store_dword v19, off, s[36:39], 0 offset:276 ; 4-byte Folded Spill
	s_waitcnt vmcnt(4)
	v_mul_f64 v[6:7], v[4:5], v[18:19]
	v_fma_f64 v[6:7], v[2:3], v[16:17], v[6:7]
	v_mul_f64 v[2:3], v[2:3], v[18:19]
	v_fma_f64 v[8:9], v[4:5], v[16:17], -v[2:3]
	v_mov_b32_e32 v2, s5
	v_addc_co_u32_e32 v11, vcc, v11, v2, vcc
	v_add_co_u32_e32 v16, vcc, s6, v158
	v_addc_co_u32_e32 v17, vcc, 0, v163, vcc
	global_load_dwordx4 v[18:21], v[16:17], off offset:1536
	global_load_dwordx4 v[2:5], v[10:11], off
	ds_write_b128 v120, v[6:9] offset:46656
	v_add_co_u32_e32 v10, vcc, s3, v10
	s_movk_i32 s6, 0x3cc
	s_waitcnt vmcnt(1)
	buffer_store_dword v18, off, s[36:39], 0 offset:248 ; 4-byte Folded Spill
	s_nop 0
	buffer_store_dword v19, off, s[36:39], 0 offset:252 ; 4-byte Folded Spill
	buffer_store_dword v20, off, s[36:39], 0 offset:256 ; 4-byte Folded Spill
	;; [unrolled: 1-line block ×3, first 2 shown]
	s_waitcnt vmcnt(4)
	v_mul_f64 v[6:7], v[4:5], v[20:21]
	v_fma_f64 v[6:7], v[2:3], v[18:19], v[6:7]
	v_mul_f64 v[2:3], v[2:3], v[20:21]
	v_fma_f64 v[8:9], v[4:5], v[18:19], -v[2:3]
	v_mov_b32_e32 v2, s2
	v_addc_co_u32_e32 v11, vcc, v11, v2, vcc
	ds_write_b128 v120, v[6:9] offset:13824
	global_load_dwordx4 v[2:5], v[10:11], off
	global_load_dwordx4 v[18:21], v[12:13], off offset:2432
	v_add_co_u32_e32 v10, vcc, s3, v10
	s_waitcnt vmcnt(0)
	buffer_store_dword v18, off, s[36:39], 0 offset:216 ; 4-byte Folded Spill
	s_nop 0
	buffer_store_dword v19, off, s[36:39], 0 offset:220 ; 4-byte Folded Spill
	buffer_store_dword v20, off, s[36:39], 0 offset:224 ; 4-byte Folded Spill
	;; [unrolled: 1-line block ×3, first 2 shown]
	v_mul_f64 v[6:7], v[4:5], v[20:21]
	v_fma_f64 v[6:7], v[2:3], v[18:19], v[6:7]
	v_mul_f64 v[2:3], v[2:3], v[20:21]
	v_fma_f64 v[8:9], v[4:5], v[18:19], -v[2:3]
	v_mov_b32_e32 v2, s2
	v_addc_co_u32_e32 v11, vcc, v11, v2, vcc
	v_add_co_u32_e32 v134, vcc, s6, v157
	s_movk_i32 s6, 0xab
	ds_write_b128 v120, v[6:9] offset:31104
	global_load_dwordx4 v[2:5], v[10:11], off
	s_nop 0
	global_load_dwordx4 v[12:15], v[14:15], off offset:3328
	v_add_co_u32_e32 v10, vcc, s4, v10
	s_waitcnt vmcnt(0)
	buffer_store_dword v12, off, s[36:39], 0 offset:184 ; 4-byte Folded Spill
	s_nop 0
	buffer_store_dword v13, off, s[36:39], 0 offset:188 ; 4-byte Folded Spill
	buffer_store_dword v14, off, s[36:39], 0 offset:192 ; 4-byte Folded Spill
	;; [unrolled: 1-line block ×3, first 2 shown]
	v_mul_f64 v[6:7], v[4:5], v[14:15]
	v_fma_f64 v[6:7], v[2:3], v[12:13], v[6:7]
	v_mul_f64 v[2:3], v[2:3], v[14:15]
	v_fma_f64 v[8:9], v[4:5], v[12:13], -v[2:3]
	v_mov_b32_e32 v2, s5
	v_addc_co_u32_e32 v11, vcc, v11, v2, vcc
	s_mov_b32 s5, 0xbfebb67a
	ds_write_b128 v120, v[6:9] offset:48384
	global_load_dwordx4 v[2:5], v[10:11], off
	global_load_dwordx4 v[12:15], v[16:17], off offset:3264
	s_waitcnt vmcnt(0)
	buffer_store_dword v12, off, s[36:39], 0 offset:168 ; 4-byte Folded Spill
	s_nop 0
	buffer_store_dword v13, off, s[36:39], 0 offset:172 ; 4-byte Folded Spill
	buffer_store_dword v14, off, s[36:39], 0 offset:176 ; 4-byte Folded Spill
	;; [unrolled: 1-line block ×3, first 2 shown]
	v_mul_f64 v[6:7], v[4:5], v[14:15]
	v_fma_f64 v[6:7], v[2:3], v[12:13], v[6:7]
	v_mul_f64 v[2:3], v[2:3], v[14:15]
	v_fma_f64 v[8:9], v[4:5], v[12:13], -v[2:3]
	v_add_co_u32_e32 v2, vcc, s3, v10
	v_mov_b32_e32 v3, s2
	v_addc_co_u32_e32 v3, vcc, v11, v3, vcc
	ds_write_b128 v120, v[6:9] offset:15552
	global_load_dwordx4 v[4:7], v[2:3], off
	global_load_dwordx4 v[10:13], v[0:1], off offset:64
	s_waitcnt vmcnt(0)
	buffer_store_dword v10, off, s[36:39], 0 offset:472 ; 4-byte Folded Spill
	s_nop 0
	buffer_store_dword v11, off, s[36:39], 0 offset:476 ; 4-byte Folded Spill
	buffer_store_dword v12, off, s[36:39], 0 offset:480 ; 4-byte Folded Spill
	;; [unrolled: 1-line block ×3, first 2 shown]
	v_mul_f64 v[0:1], v[6:7], v[12:13]
	v_fma_f64 v[8:9], v[4:5], v[10:11], v[0:1]
	v_mul_f64 v[0:1], v[4:5], v[12:13]
	v_fma_f64 v[10:11], v[6:7], v[10:11], -v[0:1]
	v_add_co_u32_e32 v0, vcc, s3, v2
	v_mov_b32_e32 v1, s2
	v_addc_co_u32_e32 v1, vcc, v3, v1, vcc
	s_mov_b32 s2, 0xc000
	v_add_co_u32_e32 v4, vcc, s2, v158
	v_addc_co_u32_e32 v5, vcc, 0, v163, vcc
	ds_write_b128 v120, v[8:11] offset:32832
	global_load_dwordx4 v[0:3], v[0:1], off
	s_nop 0
	buffer_store_dword v4, off, s[36:39], 0 offset:1764 ; 4-byte Folded Spill
	s_nop 0
	buffer_store_dword v5, off, s[36:39], 0 offset:1768 ; 4-byte Folded Spill
	s_mov_b32 s2, 0xe8584caa
	s_mov_b32 s3, 0x3febb67a
	;; [unrolled: 1-line block ×3, first 2 shown]
	global_load_dwordx4 v[4:7], v[4:5], off offset:960
	s_waitcnt vmcnt(0)
	v_mov_b32_e32 v9, v7
	v_mov_b32_e32 v8, v6
	;; [unrolled: 1-line block ×4, first 2 shown]
	v_mul_f64 v[4:5], v[2:3], v[8:9]
	v_fma_f64 v[4:5], v[0:1], v[6:7], v[4:5]
	v_mul_f64 v[0:1], v[0:1], v[8:9]
	buffer_store_dword v6, off, s[36:39], 0 offset:8 ; 4-byte Folded Spill
	s_nop 0
	buffer_store_dword v7, off, s[36:39], 0 offset:12 ; 4-byte Folded Spill
	buffer_store_dword v8, off, s[36:39], 0 offset:16 ; 4-byte Folded Spill
	;; [unrolled: 1-line block ×3, first 2 shown]
	v_fma_f64 v[6:7], v[2:3], v[6:7], -v[0:1]
	ds_write_b128 v120, v[4:7] offset:50112
	s_waitcnt vmcnt(0) lgkmcnt(0)
	s_barrier
	ds_read_b128 v[12:15], v120
	ds_read_b128 v[32:35], v120 offset:17280
	ds_read_b128 v[40:43], v120 offset:34560
	;; [unrolled: 1-line block ×29, first 2 shown]
	s_waitcnt lgkmcnt(14)
	v_add_f64 v[16:17], v[12:13], v[32:33]
	v_add_f64 v[18:19], v[34:35], -v[42:43]
	v_add_f64 v[50:51], v[78:79], -v[82:83]
	s_waitcnt lgkmcnt(0)
	s_barrier
	v_add_f64 v[20:21], v[16:17], v[40:41]
	v_add_f64 v[16:17], v[32:33], v[40:41]
	v_add_f64 v[32:33], v[32:33], -v[40:41]
	v_fma_f64 v[12:13], v[16:17], -0.5, v[12:13]
	v_fma_f64 v[16:17], v[18:19], s[2:3], v[12:13]
	v_fma_f64 v[12:13], v[18:19], s[4:5], v[12:13]
	v_add_f64 v[18:19], v[14:15], v[34:35]
	v_add_f64 v[22:23], v[18:19], v[42:43]
	;; [unrolled: 1-line block ×3, first 2 shown]
	v_add_f64 v[34:35], v[58:59], -v[66:67]
	v_fma_f64 v[14:15], v[18:19], -0.5, v[14:15]
	v_fma_f64 v[18:19], v[32:33], s[4:5], v[14:15]
	v_fma_f64 v[14:15], v[32:33], s[2:3], v[14:15]
	v_add_f64 v[32:33], v[46:47], v[56:57]
	v_add_f64 v[44:45], v[32:33], v[64:65]
	;; [unrolled: 1-line block ×3, first 2 shown]
	v_fma_f64 v[32:33], v[32:33], -0.5, v[46:47]
	v_fma_f64 v[40:41], v[34:35], s[2:3], v[32:33]
	v_fma_f64 v[32:33], v[34:35], s[4:5], v[32:33]
	v_add_f64 v[34:35], v[48:49], v[58:59]
	v_add_f64 v[46:47], v[34:35], v[66:67]
	v_add_f64 v[34:35], v[58:59], v[66:67]
	v_fma_f64 v[34:35], v[34:35], -0.5, v[48:49]
	v_add_f64 v[48:49], v[56:57], -v[64:65]
	v_fma_f64 v[42:43], v[48:49], s[4:5], v[34:35]
	v_fma_f64 v[34:35], v[48:49], s[2:3], v[34:35]
	v_add_f64 v[48:49], v[72:73], v[76:77]
	v_add_f64 v[64:65], v[48:49], v[80:81]
	v_add_f64 v[48:49], v[76:77], v[80:81]
	v_fma_f64 v[48:49], v[48:49], -0.5, v[72:73]
	v_add_f64 v[72:73], v[76:77], -v[80:81]
	;; [unrolled: 7-line block ×6, first 2 shown]
	v_fma_f64 v[100:101], v[98:99], s[2:3], v[96:97]
	v_fma_f64 v[96:97], v[98:99], s[4:5], v[96:97]
	v_add_f64 v[98:99], v[126:127], v[130:131]
	v_add_f64 v[106:107], v[98:99], v[137:138]
	;; [unrolled: 1-line block ×3, first 2 shown]
	v_fma_f64 v[98:99], v[98:99], -0.5, v[126:127]
	v_add_f64 v[126:127], v[112:113], v[116:117]
	v_fma_f64 v[102:103], v[124:125], s[4:5], v[98:99]
	v_fma_f64 v[98:99], v[124:125], s[2:3], v[98:99]
	v_add_f64 v[124:125], v[108:109], v[112:113]
	v_fma_f64 v[108:109], v[126:127], -0.5, v[108:109]
	v_add_f64 v[126:127], v[114:115], -v[118:119]
	v_add_f64 v[112:113], v[112:113], -v[116:117]
	v_add_f64 v[124:125], v[124:125], v[116:117]
	v_add_f64 v[116:117], v[86:87], -v[90:91]
	v_fma_f64 v[128:129], v[126:127], s[2:3], v[108:109]
	v_fma_f64 v[108:109], v[126:127], s[4:5], v[108:109]
	v_add_f64 v[126:127], v[110:111], v[114:115]
	v_add_f64 v[114:115], v[114:115], v[118:119]
	;; [unrolled: 1-line block ×3, first 2 shown]
	v_fma_f64 v[110:111], v[114:115], -0.5, v[110:111]
	v_add_f64 v[114:115], v[84:85], v[88:89]
	v_fma_f64 v[130:131], v[112:113], s[4:5], v[110:111]
	v_fma_f64 v[114:115], v[114:115], -0.5, v[92:93]
	v_fma_f64 v[110:111], v[112:113], s[2:3], v[110:111]
	v_add_f64 v[112:113], v[92:93], v[84:85]
	v_add_f64 v[84:85], v[84:85], -v[88:89]
	v_fma_f64 v[92:93], v[116:117], s[2:3], v[114:115]
	v_fma_f64 v[116:117], v[116:117], s[4:5], v[114:115]
	v_add_f64 v[114:115], v[94:95], v[86:87]
	v_add_f64 v[86:87], v[86:87], v[90:91]
	;; [unrolled: 1-line block ×3, first 2 shown]
	v_add_f64 v[88:89], v[54:55], -v[62:63]
	v_add_f64 v[114:115], v[114:115], v[90:91]
	v_fma_f64 v[86:87], v[86:87], -0.5, v[94:95]
	v_fma_f64 v[94:95], v[84:85], s[4:5], v[86:87]
	v_fma_f64 v[118:119], v[84:85], s[2:3], v[86:87]
	v_add_f64 v[86:87], v[52:53], v[60:61]
	v_add_f64 v[84:85], v[68:69], v[52:53]
	v_add_f64 v[52:53], v[52:53], -v[60:61]
	v_fma_f64 v[86:87], v[86:87], -0.5, v[68:69]
	v_add_f64 v[84:85], v[84:85], v[60:61]
	v_add_f64 v[60:61], v[26:27], -v[30:31]
	v_fma_f64 v[68:69], v[88:89], s[2:3], v[86:87]
	v_fma_f64 v[88:89], v[88:89], s[4:5], v[86:87]
	v_add_f64 v[86:87], v[70:71], v[54:55]
	v_add_f64 v[54:55], v[54:55], v[62:63]
	;; [unrolled: 1-line block ×3, first 2 shown]
	v_fma_f64 v[54:55], v[54:55], -0.5, v[70:71]
	v_fma_f64 v[70:71], v[52:53], s[4:5], v[54:55]
	v_fma_f64 v[90:91], v[52:53], s[2:3], v[54:55]
	v_add_f64 v[54:55], v[24:25], v[28:29]
	v_add_f64 v[52:53], v[36:37], v[24:25]
	v_add_f64 v[24:25], v[24:25], -v[28:29]
	v_fma_f64 v[54:55], v[54:55], -0.5, v[36:37]
	v_add_f64 v[52:53], v[52:53], v[28:29]
	v_add_f64 v[28:29], v[2:3], -v[6:7]
	v_fma_f64 v[36:37], v[60:61], s[2:3], v[54:55]
	v_fma_f64 v[60:61], v[60:61], s[4:5], v[54:55]
	v_add_f64 v[54:55], v[38:39], v[26:27]
	v_add_f64 v[26:27], v[26:27], v[30:31]
	;; [unrolled: 1-line block ×3, first 2 shown]
	v_fma_f64 v[26:27], v[26:27], -0.5, v[38:39]
	v_fma_f64 v[38:39], v[24:25], s[4:5], v[26:27]
	v_fma_f64 v[62:63], v[24:25], s[2:3], v[26:27]
	v_add_f64 v[26:27], v[0:1], v[4:5]
	v_add_f64 v[24:25], v[8:9], v[0:1]
	v_add_f64 v[0:1], v[0:1], -v[4:5]
	v_fma_f64 v[26:27], v[26:27], -0.5, v[8:9]
	v_add_f64 v[24:25], v[24:25], v[4:5]
	v_fma_f64 v[8:9], v[28:29], s[2:3], v[26:27]
	v_fma_f64 v[28:29], v[28:29], s[4:5], v[26:27]
	v_add_f64 v[26:27], v[10:11], v[2:3]
	v_add_f64 v[2:3], v[2:3], v[6:7]
	;; [unrolled: 1-line block ×3, first 2 shown]
	v_fma_f64 v[2:3], v[2:3], -0.5, v[10:11]
	v_fma_f64 v[10:11], v[0:1], s[4:5], v[2:3]
	v_fma_f64 v[30:31], v[0:1], s[2:3], v[2:3]
	v_mul_lo_u16_e32 v0, 3, v157
	v_lshlrev_b32_e32 v0, 4, v0
	ds_write_b128 v0, v[20:23]
	ds_write_b128 v0, v[16:19] offset:16
	buffer_store_dword v0, off, s[36:39], 0 offset:604 ; 4-byte Folded Spill
	ds_write_b128 v0, v[12:15] offset:32
	v_mul_u32_u24_e32 v0, 3, v121
	v_lshlrev_b32_e32 v0, 4, v0
	buffer_store_dword v0, off, s[36:39], 0 offset:584 ; 4-byte Folded Spill
	ds_write_b128 v0, v[44:47]
	ds_write_b128 v0, v[40:43] offset:16
	ds_write_b128 v0, v[32:35] offset:32
	v_mul_u32_u24_e32 v0, 3, v161
	v_lshlrev_b32_e32 v0, 4, v0
	buffer_store_dword v0, off, s[36:39], 0 offset:580 ; 4-byte Folded Spill
	ds_write_b128 v0, v[64:67]
	ds_write_b128 v0, v[56:59] offset:16
	ds_write_b128 v0, v[48:51] offset:32
	v_mul_u32_u24_e32 v0, 3, v174
	v_lshlrev_b32_e32 v0, 4, v0
	buffer_store_dword v0, off, s[36:39], 0 offset:576 ; 4-byte Folded Spill
	ds_write_b128 v0, v[80:83]
	ds_write_b128 v0, v[76:79] offset:16
	ds_write_b128 v0, v[72:75] offset:32
	v_mul_u32_u24_e32 v0, 3, v164
	v_lshlrev_b32_e32 v0, 4, v0
	buffer_store_dword v0, off, s[36:39], 0 offset:572 ; 4-byte Folded Spill
	ds_write_b128 v0, v[104:107]
	ds_write_b128 v0, v[100:103] offset:16
	ds_write_b128 v0, v[96:99] offset:32
	v_mul_u32_u24_e32 v0, 3, v122
	v_lshlrev_b32_e32 v0, 4, v0
	buffer_store_dword v0, off, s[36:39], 0 offset:536 ; 4-byte Folded Spill
	ds_write_b128 v0, v[124:127]
	ds_write_b128 v0, v[128:131] offset:16
	ds_write_b128 v0, v[108:111] offset:32
	v_mul_u32_u24_e32 v0, 3, v123
	v_lshlrev_b32_e32 v0, 4, v0
	buffer_store_dword v0, off, s[36:39], 0 offset:532 ; 4-byte Folded Spill
	ds_write_b128 v0, v[112:115]
	ds_write_b128 v0, v[92:95] offset:16
	ds_write_b128 v0, v[116:119] offset:32
	v_mul_u32_u24_e32 v0, 3, v132
	v_mul_lo_u16_sdwa v96, v157, s6 dst_sel:DWORD dst_unused:UNUSED_PAD src0_sel:BYTE_0 src1_sel:DWORD
	v_lshlrev_b32_e32 v0, 4, v0
	v_lshrrev_b16_e32 v124, 9, v96
	buffer_store_dword v0, off, s[36:39], 0 offset:528 ; 4-byte Folded Spill
	ds_write_b128 v0, v[84:87]
	ds_write_b128 v0, v[68:71] offset:16
	ds_write_b128 v0, v[88:91] offset:32
	v_mul_u32_u24_e32 v0, 3, v133
	v_mul_lo_u16_e32 v96, 3, v124
	v_lshlrev_b32_e32 v0, 4, v0
	v_sub_u16_e32 v96, v157, v96
	buffer_store_dword v0, off, s[36:39], 0 offset:524 ; 4-byte Folded Spill
	ds_write_b128 v0, v[52:55]
	ds_write_b128 v0, v[36:39] offset:16
	ds_write_b128 v0, v[60:63] offset:32
	v_mul_u32_u24_e32 v0, 3, v134
	v_and_b32_e32 v125, 0xff, v96
	v_lshlrev_b32_e32 v0, 4, v0
	v_lshlrev_b32_e32 v96, 5, v125
	buffer_store_dword v0, off, s[36:39], 0 offset:488 ; 4-byte Folded Spill
	ds_write_b128 v0, v[24:27]
	ds_write_b128 v0, v[8:11] offset:16
	ds_write_b128 v0, v[28:31] offset:32
	s_waitcnt vmcnt(0) lgkmcnt(0)
	s_barrier
	ds_read_b128 v[36:39], v120
	ds_read_b128 v[88:91], v120 offset:17280
	ds_read_b128 v[92:95], v120 offset:34560
	;; [unrolled: 1-line block ×29, first 2 shown]
	global_load_dwordx4 v[106:109], v96, s[10:11] offset:16
	global_load_dwordx4 v[110:113], v96, s[10:11]
	s_waitcnt vmcnt(0)
	buffer_store_dword v110, off, s[36:39], 0 offset:508 ; 4-byte Folded Spill
	s_nop 0
	buffer_store_dword v111, off, s[36:39], 0 offset:512 ; 4-byte Folded Spill
	buffer_store_dword v112, off, s[36:39], 0 offset:516 ; 4-byte Folded Spill
	;; [unrolled: 1-line block ×3, first 2 shown]
	s_waitcnt lgkmcnt(14)
	v_mul_f64 v[96:97], v[90:91], v[112:113]
	v_fma_f64 v[104:105], v[88:89], v[110:111], -v[96:97]
	v_mul_f64 v[88:89], v[88:89], v[112:113]
	v_fma_f64 v[116:117], v[90:91], v[110:111], v[88:89]
	v_mov_b32_e32 v113, v109
	v_mov_b32_e32 v112, v108
	;; [unrolled: 1-line block ×4, first 2 shown]
	buffer_store_dword v110, off, s[36:39], 0 offset:492 ; 4-byte Folded Spill
	s_nop 0
	buffer_store_dword v111, off, s[36:39], 0 offset:496 ; 4-byte Folded Spill
	buffer_store_dword v112, off, s[36:39], 0 offset:500 ; 4-byte Folded Spill
	;; [unrolled: 1-line block ×3, first 2 shown]
	v_mul_f64 v[88:89], v[94:95], v[112:113]
	v_fma_f64 v[108:109], v[92:93], v[110:111], -v[88:89]
	v_mul_f64 v[88:89], v[92:93], v[112:113]
	v_fma_f64 v[118:119], v[94:95], v[110:111], v[88:89]
	v_mul_lo_u16_sdwa v88, v121, s6 dst_sel:DWORD dst_unused:UNUSED_PAD src0_sel:BYTE_0 src1_sel:DWORD
	v_lshrrev_b16_e32 v126, 9, v88
	v_mul_lo_u16_e32 v88, 3, v126
	v_sub_u16_e32 v88, v121, v88
	v_and_b32_e32 v127, 0xff, v88
	v_lshlrev_b32_e32 v88, 5, v127
	global_load_dwordx4 v[90:93], v88, s[10:11] offset:16
	s_waitcnt vmcnt(0)
	buffer_store_dword v90, off, s[36:39], 0 offset:540 ; 4-byte Folded Spill
	s_nop 0
	buffer_store_dword v91, off, s[36:39], 0 offset:544 ; 4-byte Folded Spill
	buffer_store_dword v92, off, s[36:39], 0 offset:548 ; 4-byte Folded Spill
	;; [unrolled: 1-line block ×3, first 2 shown]
	global_load_dwordx4 v[110:113], v88, s[10:11]
	s_waitcnt vmcnt(0)
	buffer_store_dword v110, off, s[36:39], 0 offset:556 ; 4-byte Folded Spill
	s_nop 0
	buffer_store_dword v111, off, s[36:39], 0 offset:560 ; 4-byte Folded Spill
	buffer_store_dword v112, off, s[36:39], 0 offset:564 ; 4-byte Folded Spill
	buffer_store_dword v113, off, s[36:39], 0 offset:568 ; 4-byte Folded Spill
	s_mov_b32 s6, 0xaaab
	v_mul_f64 v[88:89], v[100:101], v[112:113]
	v_fma_f64 v[96:97], v[98:99], v[110:111], -v[88:89]
	v_mul_f64 v[88:89], v[98:99], v[112:113]
	v_fma_f64 v[112:113], v[100:101], v[110:111], v[88:89]
	v_mul_f64 v[88:89], v[130:131], v[92:93]
	v_fma_f64 v[100:101], v[128:129], v[90:91], -v[88:89]
	v_mul_f64 v[88:89], v[128:129], v[92:93]
	v_fma_f64 v[114:115], v[130:131], v[90:91], v[88:89]
	v_mul_u32_u24_sdwa v88, v161, s6 dst_sel:DWORD dst_unused:UNUSED_PAD src0_sel:WORD_0 src1_sel:DWORD
	v_lshrrev_b32_e32 v128, 17, v88
	v_mul_lo_u16_e32 v88, 3, v128
	v_sub_u16_e32 v129, v161, v88
	v_lshlrev_b16_e32 v88, 1, v129
	v_lshlrev_b32_e32 v88, 4, v88
	global_load_dwordx4 v[151:154], v88, s[10:11] offset:16
	s_waitcnt vmcnt(0)
	buffer_store_dword v151, off, s[36:39], 0 offset:588 ; 4-byte Folded Spill
	s_nop 0
	buffer_store_dword v152, off, s[36:39], 0 offset:592 ; 4-byte Folded Spill
	buffer_store_dword v153, off, s[36:39], 0 offset:596 ; 4-byte Folded Spill
	;; [unrolled: 1-line block ×3, first 2 shown]
	global_load_dwordx4 v[165:168], v88, s[10:11]
	s_waitcnt vmcnt(0)
	buffer_store_dword v165, off, s[36:39], 0 offset:608 ; 4-byte Folded Spill
	s_nop 0
	buffer_store_dword v166, off, s[36:39], 0 offset:612 ; 4-byte Folded Spill
	buffer_store_dword v167, off, s[36:39], 0 offset:616 ; 4-byte Folded Spill
	;; [unrolled: 1-line block ×3, first 2 shown]
	v_mul_f64 v[88:89], v[137:138], v[167:168]
	v_fma_f64 v[92:93], v[135:136], v[165:166], -v[88:89]
	v_mul_f64 v[88:89], v[135:136], v[167:168]
	v_fma_f64 v[106:107], v[137:138], v[165:166], v[88:89]
	v_mul_f64 v[88:89], v[141:142], v[153:154]
	v_fma_f64 v[94:95], v[139:140], v[151:152], -v[88:89]
	v_mul_f64 v[88:89], v[139:140], v[153:154]
	v_fma_f64 v[110:111], v[141:142], v[151:152], v[88:89]
	v_mul_u32_u24_sdwa v88, v174, s6 dst_sel:DWORD dst_unused:UNUSED_PAD src0_sel:WORD_0 src1_sel:DWORD
	v_lshrrev_b32_e32 v130, 17, v88
	v_mul_lo_u16_e32 v88, 3, v130
	v_sub_u16_e32 v131, v174, v88
	v_lshlrev_b16_e32 v88, 1, v131
	v_lshlrev_b32_e32 v88, 4, v88
	global_load_dwordx4 v[135:138], v88, s[10:11] offset:16
	global_load_dwordx4 v[139:142], v88, s[10:11]
	s_waitcnt vmcnt(0)
	buffer_store_dword v139, off, s[36:39], 0 offset:640 ; 4-byte Folded Spill
	s_nop 0
	buffer_store_dword v140, off, s[36:39], 0 offset:644 ; 4-byte Folded Spill
	buffer_store_dword v141, off, s[36:39], 0 offset:648 ; 4-byte Folded Spill
	;; [unrolled: 1-line block ×4, first 2 shown]
	s_nop 0
	buffer_store_dword v136, off, s[36:39], 0 offset:628 ; 4-byte Folded Spill
	buffer_store_dword v137, off, s[36:39], 0 offset:632 ; 4-byte Folded Spill
	;; [unrolled: 1-line block ×3, first 2 shown]
	v_mul_f64 v[90:91], v[143:144], v[141:142]
	v_mul_f64 v[102:103], v[147:148], v[137:138]
	;; [unrolled: 1-line block ×3, first 2 shown]
	v_fma_f64 v[98:99], v[145:146], v[139:140], v[90:91]
	v_mul_f64 v[90:91], v[149:150], v[137:138]
	v_fma_f64 v[102:103], v[149:150], v[135:136], v[102:103]
	v_fma_f64 v[88:89], v[143:144], v[139:140], -v[88:89]
	v_fma_f64 v[90:91], v[147:148], v[135:136], -v[90:91]
	v_mul_u32_u24_sdwa v135, v164, s6 dst_sel:DWORD dst_unused:UNUSED_PAD src0_sel:WORD_0 src1_sel:DWORD
	v_lshrrev_b32_e32 v135, 17, v135
	v_mul_lo_u16_e32 v136, 3, v135
	v_sub_u16_e32 v136, v164, v136
	v_lshlrev_b16_e32 v137, 1, v136
	v_lshlrev_b32_e32 v137, 4, v137
	global_load_dwordx4 v[145:148], v137, s[10:11] offset:16
	global_load_dwordx4 v[139:142], v137, s[10:11]
	s_waitcnt vmcnt(0)
	v_mul_f64 v[137:138], v[86:87], v[141:142]
	v_fma_f64 v[137:138], v[84:85], v[139:140], -v[137:138]
	buffer_store_dword v139, off, s[36:39], 0 offset:700 ; 4-byte Folded Spill
	s_nop 0
	buffer_store_dword v140, off, s[36:39], 0 offset:704 ; 4-byte Folded Spill
	buffer_store_dword v141, off, s[36:39], 0 offset:708 ; 4-byte Folded Spill
	;; [unrolled: 1-line block ×4, first 2 shown]
	s_nop 0
	buffer_store_dword v146, off, s[36:39], 0 offset:752 ; 4-byte Folded Spill
	buffer_store_dword v147, off, s[36:39], 0 offset:756 ; 4-byte Folded Spill
	;; [unrolled: 1-line block ×3, first 2 shown]
	v_mul_f64 v[84:85], v[84:85], v[141:142]
	v_fma_f64 v[139:140], v[86:87], v[139:140], v[84:85]
	v_mul_f64 v[84:85], v[82:83], v[147:148]
	v_fma_f64 v[141:142], v[80:81], v[145:146], -v[84:85]
	v_mul_f64 v[80:81], v[80:81], v[147:148]
	v_fma_f64 v[143:144], v[82:83], v[145:146], v[80:81]
	v_mul_u32_u24_sdwa v80, v122, s6 dst_sel:DWORD dst_unused:UNUSED_PAD src0_sel:WORD_0 src1_sel:DWORD
	v_lshrrev_b32_e32 v80, 17, v80
	v_mul_lo_u16_e32 v81, 3, v80
	v_sub_u16_e32 v81, v122, v81
	v_lshlrev_b16_e32 v82, 1, v81
	v_lshlrev_b32_e32 v82, 4, v82
	global_load_dwordx4 v[84:87], v82, s[10:11] offset:16
	global_load_dwordx4 v[147:150], v82, s[10:11]
	s_waitcnt vmcnt(0) lgkmcnt(13)
	v_mul_f64 v[82:83], v[78:79], v[149:150]
	v_fma_f64 v[145:146], v[76:77], v[147:148], -v[82:83]
	buffer_store_dword v147, off, s[36:39], 0 offset:768 ; 4-byte Folded Spill
	s_nop 0
	buffer_store_dword v148, off, s[36:39], 0 offset:772 ; 4-byte Folded Spill
	buffer_store_dword v149, off, s[36:39], 0 offset:776 ; 4-byte Folded Spill
	;; [unrolled: 1-line block ×4, first 2 shown]
	s_nop 0
	buffer_store_dword v85, off, s[36:39], 0 offset:788 ; 4-byte Folded Spill
	buffer_store_dword v86, off, s[36:39], 0 offset:792 ; 4-byte Folded Spill
	;; [unrolled: 1-line block ×3, first 2 shown]
	v_mul_f64 v[76:77], v[76:77], v[149:150]
	v_fma_f64 v[147:148], v[78:79], v[147:148], v[76:77]
	s_waitcnt lgkmcnt(12)
	v_mul_f64 v[76:77], v[74:75], v[86:87]
	v_fma_f64 v[149:150], v[72:73], v[84:85], -v[76:77]
	v_mul_f64 v[72:73], v[72:73], v[86:87]
	v_fma_f64 v[151:152], v[74:75], v[84:85], v[72:73]
	v_mul_u32_u24_sdwa v72, v123, s6 dst_sel:DWORD dst_unused:UNUSED_PAD src0_sel:WORD_0 src1_sel:DWORD
	v_lshrrev_b32_e32 v78, 17, v72
	v_mul_lo_u16_e32 v72, 3, v78
	v_sub_u16_e32 v79, v123, v72
	v_lshlrev_b16_e32 v72, 1, v79
	v_lshlrev_b32_e32 v72, 4, v72
	global_load_dwordx4 v[74:77], v72, s[10:11] offset:16
	global_load_dwordx4 v[82:85], v72, s[10:11]
	s_waitcnt vmcnt(0)
	buffer_store_dword v82, off, s[36:39], 0 offset:884 ; 4-byte Folded Spill
	s_nop 0
	buffer_store_dword v83, off, s[36:39], 0 offset:888 ; 4-byte Folded Spill
	buffer_store_dword v84, off, s[36:39], 0 offset:892 ; 4-byte Folded Spill
	;; [unrolled: 1-line block ×4, first 2 shown]
	s_nop 0
	buffer_store_dword v75, off, s[36:39], 0 offset:904 ; 4-byte Folded Spill
	buffer_store_dword v76, off, s[36:39], 0 offset:908 ; 4-byte Folded Spill
	;; [unrolled: 1-line block ×3, first 2 shown]
	s_waitcnt lgkmcnt(10)
	v_mul_f64 v[72:73], v[70:71], v[84:85]
	v_fma_f64 v[122:123], v[68:69], v[82:83], -v[72:73]
	v_mul_f64 v[68:69], v[68:69], v[84:85]
	v_fma_f64 v[153:154], v[70:71], v[82:83], v[68:69]
	s_waitcnt lgkmcnt(9)
	v_mul_f64 v[68:69], v[66:67], v[76:77]
	v_fma_f64 v[155:156], v[64:65], v[74:75], -v[68:69]
	v_mul_f64 v[64:65], v[64:65], v[76:77]
	v_fma_f64 v[159:160], v[66:67], v[74:75], v[64:65]
	v_mul_u32_u24_sdwa v64, v132, s6 dst_sel:DWORD dst_unused:UNUSED_PAD src0_sel:WORD_0 src1_sel:DWORD
	v_lshrrev_b32_e32 v82, 17, v64
	v_mul_lo_u16_e32 v64, 3, v82
	v_sub_u16_e32 v83, v132, v64
	v_lshlrev_b16_e32 v64, 1, v83
	v_lshlrev_b32_e32 v64, 4, v64
	global_load_dwordx4 v[66:69], v64, s[10:11] offset:16
	global_load_dwordx4 v[72:75], v64, s[10:11]
	s_waitcnt vmcnt(0) lgkmcnt(7)
	v_mul_f64 v[64:65], v[62:63], v[74:75]
	v_fma_f64 v[70:71], v[60:61], v[72:73], -v[64:65]
	buffer_store_dword v72, off, s[36:39], 0 offset:920 ; 4-byte Folded Spill
	s_nop 0
	buffer_store_dword v73, off, s[36:39], 0 offset:924 ; 4-byte Folded Spill
	buffer_store_dword v74, off, s[36:39], 0 offset:928 ; 4-byte Folded Spill
	buffer_store_dword v75, off, s[36:39], 0 offset:932 ; 4-byte Folded Spill
	buffer_store_dword v66, off, s[36:39], 0 offset:940 ; 4-byte Folded Spill
	s_nop 0
	buffer_store_dword v67, off, s[36:39], 0 offset:944 ; 4-byte Folded Spill
	buffer_store_dword v68, off, s[36:39], 0 offset:948 ; 4-byte Folded Spill
	;; [unrolled: 1-line block ×3, first 2 shown]
	v_mul_f64 v[60:61], v[60:61], v[74:75]
	v_fma_f64 v[76:77], v[62:63], v[72:73], v[60:61]
	s_waitcnt lgkmcnt(6)
	v_mul_f64 v[60:61], v[58:59], v[68:69]
	v_fma_f64 v[74:75], v[56:57], v[66:67], -v[60:61]
	v_mul_f64 v[56:57], v[56:57], v[68:69]
	v_fma_f64 v[165:166], v[58:59], v[66:67], v[56:57]
	v_mul_u32_u24_sdwa v56, v133, s6 dst_sel:DWORD dst_unused:UNUSED_PAD src0_sel:WORD_0 src1_sel:DWORD
	v_lshrrev_b32_e32 v84, 17, v56
	v_mul_lo_u16_e32 v56, 3, v84
	v_sub_u16_e32 v85, v133, v56
	v_lshlrev_b16_e32 v56, 1, v85
	v_lshlrev_b32_e32 v56, 4, v56
	global_load_dwordx4 v[58:61], v56, s[10:11] offset:16
	global_load_dwordx4 v[64:67], v56, s[10:11]
	s_waitcnt vmcnt(0)
	buffer_store_dword v64, off, s[36:39], 0 offset:976 ; 4-byte Folded Spill
	s_nop 0
	buffer_store_dword v65, off, s[36:39], 0 offset:980 ; 4-byte Folded Spill
	buffer_store_dword v66, off, s[36:39], 0 offset:984 ; 4-byte Folded Spill
	;; [unrolled: 1-line block ×4, first 2 shown]
	s_nop 0
	buffer_store_dword v59, off, s[36:39], 0 offset:1012 ; 4-byte Folded Spill
	buffer_store_dword v60, off, s[36:39], 0 offset:1016 ; 4-byte Folded Spill
	;; [unrolled: 1-line block ×3, first 2 shown]
	v_add_f64 v[132:133], v[145:146], -v[149:150]
	s_waitcnt lgkmcnt(4)
	v_mul_f64 v[56:57], v[54:55], v[66:67]
	v_fma_f64 v[62:63], v[52:53], v[64:65], -v[56:57]
	v_mul_f64 v[52:53], v[52:53], v[66:67]
	v_fma_f64 v[68:69], v[54:55], v[64:65], v[52:53]
	s_waitcnt lgkmcnt(3)
	v_mul_f64 v[52:53], v[50:51], v[60:61]
	v_add_f64 v[54:55], v[112:113], v[114:115]
	v_fma_f64 v[66:67], v[48:49], v[58:59], -v[52:53]
	v_mul_f64 v[48:49], v[48:49], v[60:61]
	v_fma_f64 v[72:73], v[50:51], v[58:59], v[48:49]
	v_mul_u32_u24_sdwa v48, v134, s6 dst_sel:DWORD dst_unused:UNUSED_PAD src0_sel:WORD_0 src1_sel:DWORD
	v_lshrrev_b32_e32 v86, 17, v48
	v_mul_lo_u16_e32 v48, 3, v86
	v_sub_u16_e32 v87, v134, v48
	v_lshlrev_b16_e32 v48, 1, v87
	v_lshlrev_b32_e32 v48, 4, v48
	global_load_dwordx4 v[50:53], v48, s[10:11] offset:16
	global_load_dwordx4 v[58:61], v48, s[10:11]
	s_waitcnt vmcnt(0)
	buffer_store_dword v58, off, s[36:39], 0 offset:1060 ; 4-byte Folded Spill
	s_nop 0
	buffer_store_dword v59, off, s[36:39], 0 offset:1064 ; 4-byte Folded Spill
	buffer_store_dword v60, off, s[36:39], 0 offset:1068 ; 4-byte Folded Spill
	;; [unrolled: 1-line block ×4, first 2 shown]
	s_nop 0
	buffer_store_dword v51, off, s[36:39], 0 offset:1080 ; 4-byte Folded Spill
	buffer_store_dword v52, off, s[36:39], 0 offset:1084 ; 4-byte Folded Spill
	;; [unrolled: 1-line block ×3, first 2 shown]
	s_waitcnt vmcnt(0) lgkmcnt(0)
	s_barrier
	v_mul_f64 v[48:49], v[46:47], v[60:61]
	v_fma_f64 v[56:57], v[44:45], v[58:59], -v[48:49]
	v_mul_f64 v[44:45], v[44:45], v[60:61]
	v_add_f64 v[48:49], v[104:105], -v[108:109]
	v_fma_f64 v[60:61], v[46:47], v[58:59], v[44:45]
	v_mul_f64 v[44:45], v[42:43], v[52:53]
	v_add_f64 v[46:47], v[116:117], v[118:119]
	v_fma_f64 v[58:59], v[40:41], v[50:51], -v[44:45]
	v_mul_f64 v[40:41], v[40:41], v[52:53]
	v_fma_f64 v[64:65], v[42:43], v[50:51], v[40:41]
	v_add_f64 v[42:43], v[104:105], v[108:109]
	v_add_f64 v[40:41], v[36:37], v[104:105]
	;; [unrolled: 1-line block ×3, first 2 shown]
	v_fma_f64 v[36:37], v[42:43], -0.5, v[36:37]
	v_add_f64 v[42:43], v[116:117], -v[118:119]
	v_add_f64 v[40:41], v[40:41], v[108:109]
	v_add_f64 v[108:109], v[137:138], -v[141:142]
	v_fma_f64 v[44:45], v[42:43], s[2:3], v[36:37]
	v_fma_f64 v[36:37], v[42:43], s[4:5], v[36:37]
	v_add_f64 v[42:43], v[38:39], v[116:117]
	v_fma_f64 v[38:39], v[46:47], -0.5, v[38:39]
	v_add_f64 v[116:117], v[147:148], -v[151:152]
	v_add_f64 v[42:43], v[42:43], v[118:119]
	v_fma_f64 v[46:47], v[48:49], s[4:5], v[38:39]
	v_fma_f64 v[38:39], v[48:49], s[2:3], v[38:39]
	v_add_f64 v[48:49], v[32:33], v[96:97]
	v_fma_f64 v[32:33], v[50:51], -0.5, v[32:33]
	v_add_f64 v[50:51], v[112:113], -v[114:115]
	v_add_f64 v[96:97], v[96:97], -v[100:101]
	v_add_f64 v[118:119], v[147:148], v[151:152]
	v_add_f64 v[48:49], v[48:49], v[100:101]
	v_add_f64 v[100:101], v[106:107], -v[110:111]
	v_fma_f64 v[52:53], v[50:51], s[2:3], v[32:33]
	v_fma_f64 v[32:33], v[50:51], s[4:5], v[32:33]
	v_add_f64 v[50:51], v[34:35], v[112:113]
	v_fma_f64 v[34:35], v[54:55], -0.5, v[34:35]
	v_fma_f64 v[118:119], v[118:119], -0.5, v[18:19]
	v_add_f64 v[50:51], v[50:51], v[114:115]
	v_fma_f64 v[54:55], v[96:97], s[4:5], v[34:35]
	v_fma_f64 v[34:35], v[96:97], s[2:3], v[34:35]
	v_add_f64 v[96:97], v[28:29], v[92:93]
	v_add_f64 v[112:113], v[96:97], v[94:95]
	;; [unrolled: 1-line block ×3, first 2 shown]
	v_add_f64 v[92:93], v[92:93], -v[94:95]
	v_add_f64 v[94:95], v[88:89], v[90:91]
	v_fma_f64 v[96:97], v[96:97], -0.5, v[28:29]
	v_fma_f64 v[94:95], v[94:95], -0.5, v[24:25]
	v_fma_f64 v[28:29], v[100:101], s[2:3], v[96:97]
	v_fma_f64 v[104:105], v[100:101], s[4:5], v[96:97]
	v_add_f64 v[96:97], v[30:31], v[106:107]
	v_add_f64 v[100:101], v[139:140], -v[143:144]
	v_add_f64 v[114:115], v[96:97], v[110:111]
	v_add_f64 v[96:97], v[106:107], v[110:111]
	;; [unrolled: 1-line block ×3, first 2 shown]
	v_fma_f64 v[96:97], v[96:97], -0.5, v[30:31]
	v_fma_f64 v[110:111], v[110:111], -0.5, v[16:17]
	v_fma_f64 v[30:31], v[92:93], s[4:5], v[96:97]
	v_fma_f64 v[106:107], v[92:93], s[2:3], v[96:97]
	v_add_f64 v[96:97], v[98:99], -v[102:103]
	v_add_f64 v[92:93], v[24:25], v[88:89]
	v_add_f64 v[88:89], v[88:89], -v[90:91]
	v_fma_f64 v[24:25], v[96:97], s[2:3], v[94:95]
	v_fma_f64 v[96:97], v[96:97], s[4:5], v[94:95]
	v_add_f64 v[94:95], v[26:27], v[98:99]
	v_add_f64 v[92:93], v[92:93], v[90:91]
	;; [unrolled: 1-line block ×6, first 2 shown]
	v_fma_f64 v[98:99], v[98:99], -0.5, v[26:27]
	v_fma_f64 v[90:91], v[90:91], -0.5, v[20:21]
	v_fma_f64 v[102:103], v[102:103], -0.5, v[22:23]
	v_fma_f64 v[26:27], v[88:89], s[4:5], v[98:99]
	v_fma_f64 v[98:99], v[88:89], s[2:3], v[98:99]
	v_add_f64 v[88:89], v[20:21], v[137:138]
	v_fma_f64 v[20:21], v[100:101], s[2:3], v[90:91]
	v_fma_f64 v[100:101], v[100:101], s[4:5], v[90:91]
	v_add_f64 v[90:91], v[22:23], v[139:140]
	v_add_f64 v[139:140], v[153:154], -v[159:160]
	v_fma_f64 v[22:23], v[108:109], s[4:5], v[102:103]
	v_fma_f64 v[102:103], v[108:109], s[2:3], v[102:103]
	v_add_f64 v[108:109], v[16:17], v[145:146]
	v_fma_f64 v[16:17], v[116:117], s[2:3], v[110:111]
	v_fma_f64 v[116:117], v[116:117], s[4:5], v[110:111]
	v_add_f64 v[110:111], v[18:19], v[147:148]
	;; [unrolled: 3-line block ×3, first 2 shown]
	v_add_f64 v[88:89], v[88:89], v[141:142]
	v_add_f64 v[90:91], v[90:91], v[143:144]
	;; [unrolled: 1-line block ×6, first 2 shown]
	v_add_f64 v[122:123], v[122:123], -v[155:156]
	v_fma_f64 v[132:133], v[132:133], -0.5, v[12:13]
	v_fma_f64 v[12:13], v[139:140], s[2:3], v[132:133]
	v_fma_f64 v[141:142], v[139:140], s[4:5], v[132:133]
	v_add_f64 v[132:133], v[14:15], v[153:154]
	v_add_f64 v[139:140], v[132:133], v[159:160]
	;; [unrolled: 1-line block ×3, first 2 shown]
	v_mov_b32_e32 v160, s11
	v_mov_b32_e32 v159, s10
	v_fma_f64 v[132:133], v[132:133], -0.5, v[14:15]
	v_fma_f64 v[14:15], v[122:123], s[4:5], v[132:133]
	v_fma_f64 v[143:144], v[122:123], s[2:3], v[132:133]
	v_add_f64 v[122:123], v[8:9], v[70:71]
	v_add_f64 v[132:133], v[76:77], -v[165:166]
	v_add_f64 v[145:146], v[122:123], v[74:75]
	v_add_f64 v[122:123], v[70:71], v[74:75]
	v_add_f64 v[70:71], v[70:71], -v[74:75]
	v_fma_f64 v[122:123], v[122:123], -0.5, v[8:9]
	v_fma_f64 v[8:9], v[132:133], s[2:3], v[122:123]
	v_fma_f64 v[149:150], v[132:133], s[4:5], v[122:123]
	v_add_f64 v[122:123], v[10:11], v[76:77]
	v_add_f64 v[76:77], v[76:77], v[165:166]
	;; [unrolled: 1-line block ×3, first 2 shown]
	v_fma_f64 v[76:77], v[76:77], -0.5, v[10:11]
	v_mul_lo_u16_sdwa v122, v157, v162 dst_sel:DWORD dst_unused:UNUSED_PAD src0_sel:BYTE_0 src1_sel:DWORD
	v_lshrrev_b16_e32 v166, 9, v122
	v_mul_lo_u16_e32 v122, 9, v166
	v_sub_u16_e32 v122, v157, v122
	v_and_b32_e32 v167, 0xff, v122
	v_mad_u64_u32 v[122:123], s[6:7], v167, s8, v[159:160]
	v_fma_f64 v[10:11], v[70:71], s[4:5], v[76:77]
	v_fma_f64 v[151:152], v[70:71], s[2:3], v[76:77]
	v_add_f64 v[70:71], v[4:5], v[62:63]
	v_add_f64 v[76:77], v[68:69], -v[72:73]
	v_mov_b32_e32 v165, s11
	s_movk_i32 s11, 0x5a
	v_add_f64 v[74:75], v[70:71], v[66:67]
	v_add_f64 v[70:71], v[62:63], v[66:67]
	v_add_f64 v[62:63], v[62:63], -v[66:67]
	v_fma_f64 v[70:71], v[70:71], -0.5, v[4:5]
	v_fma_f64 v[4:5], v[76:77], s[2:3], v[70:71]
	v_fma_f64 v[70:71], v[76:77], s[4:5], v[70:71]
	v_add_f64 v[76:77], v[6:7], v[68:69]
	v_add_f64 v[68:69], v[68:69], v[72:73]
	;; [unrolled: 1-line block ×3, first 2 shown]
	v_fma_f64 v[68:69], v[68:69], -0.5, v[6:7]
	v_fma_f64 v[6:7], v[62:63], s[4:5], v[68:69]
	v_fma_f64 v[72:73], v[62:63], s[2:3], v[68:69]
	v_add_f64 v[62:63], v[0:1], v[56:57]
	v_add_f64 v[68:69], v[60:61], -v[64:65]
	v_add_f64 v[66:67], v[62:63], v[58:59]
	v_add_f64 v[62:63], v[56:57], v[58:59]
	v_add_f64 v[56:57], v[56:57], -v[58:59]
	v_fma_f64 v[62:63], v[62:63], -0.5, v[0:1]
	v_fma_f64 v[0:1], v[68:69], s[2:3], v[62:63]
	v_fma_f64 v[62:63], v[68:69], s[4:5], v[62:63]
	v_add_f64 v[68:69], v[2:3], v[60:61]
	v_add_f64 v[60:61], v[60:61], v[64:65]
	;; [unrolled: 1-line block ×3, first 2 shown]
	v_fma_f64 v[60:61], v[60:61], -0.5, v[2:3]
	v_fma_f64 v[2:3], v[56:57], s[4:5], v[60:61]
	v_fma_f64 v[64:65], v[56:57], s[2:3], v[60:61]
	v_mul_u32_u24_e32 v56, 9, v124
	v_add_lshl_u32 v56, v56, v125, 4
	buffer_store_dword v56, off, s[36:39], 0 offset:1092 ; 4-byte Folded Spill
	ds_write_b128 v56, v[40:43]
	ds_write_b128 v56, v[44:47] offset:48
	ds_write_b128 v56, v[36:39] offset:96
	v_mul_u32_u24_e32 v36, 9, v126
	v_add_lshl_u32 v36, v36, v127, 4
	buffer_store_dword v36, off, s[36:39], 0 offset:1056 ; 4-byte Folded Spill
	ds_write_b128 v36, v[48:51]
	ds_write_b128 v36, v[52:55] offset:48
	ds_write_b128 v36, v[32:35] offset:96
	v_mad_legacy_u16 v32, v128, 9, v129
	v_lshlrev_b32_e32 v32, 4, v32
	buffer_store_dword v32, off, s[36:39], 0 offset:956 ; 4-byte Folded Spill
	ds_write_b128 v32, v[112:115]
	ds_write_b128 v32, v[28:31] offset:48
	ds_write_b128 v32, v[104:107] offset:96
	v_mad_legacy_u16 v28, v130, 9, v131
	v_lshlrev_b32_e32 v28, 4, v28
	buffer_store_dword v28, off, s[36:39], 0 offset:936 ; 4-byte Folded Spill
	ds_write_b128 v28, v[92:95]
	ds_write_b128 v28, v[24:27] offset:48
	ds_write_b128 v28, v[96:99] offset:96
	v_mad_legacy_u16 v24, v135, 9, v136
	v_lshlrev_b32_e32 v24, 4, v24
	buffer_store_dword v24, off, s[36:39], 0 offset:916 ; 4-byte Folded Spill
	ds_write_b128 v24, v[88:91]
	ds_write_b128 v24, v[20:23] offset:48
	ds_write_b128 v24, v[100:103] offset:96
	v_mad_legacy_u16 v20, v80, 9, v81
	v_lshlrev_b32_e32 v20, 4, v20
	buffer_store_dword v20, off, s[36:39], 0 offset:800 ; 4-byte Folded Spill
	ds_write_b128 v20, v[108:111]
	ds_write_b128 v20, v[16:19] offset:48
	ds_write_b128 v20, v[116:119] offset:96
	v_mad_legacy_u16 v16, v78, 9, v79
	v_lshlrev_b32_e32 v16, 4, v16
	buffer_store_dword v16, off, s[36:39], 0 offset:764 ; 4-byte Folded Spill
	ds_write_b128 v16, v[137:140]
	ds_write_b128 v16, v[12:15] offset:48
	ds_write_b128 v16, v[141:144] offset:96
	v_mad_legacy_u16 v12, v82, 9, v83
	v_lshlrev_b32_e32 v12, 4, v12
	buffer_store_dword v12, off, s[36:39], 0 offset:664 ; 4-byte Folded Spill
	ds_write_b128 v12, v[145:148]
	ds_write_b128 v12, v[8:11] offset:48
	ds_write_b128 v12, v[149:152] offset:96
	v_mad_legacy_u16 v8, v84, 9, v85
	v_lshlrev_b32_e32 v8, 4, v8
	buffer_store_dword v8, off, s[36:39], 0 offset:660 ; 4-byte Folded Spill
	ds_write_b128 v8, v[74:77]
	ds_write_b128 v8, v[4:7] offset:48
	ds_write_b128 v8, v[70:73] offset:96
	v_mad_legacy_u16 v4, v86, 9, v87
	v_lshlrev_b32_e32 v4, 4, v4
	buffer_store_dword v4, off, s[36:39], 0 offset:656 ; 4-byte Folded Spill
	ds_write_b128 v4, v[66:69]
	ds_write_b128 v4, v[0:3] offset:48
	ds_write_b128 v4, v[62:65] offset:96
	s_waitcnt vmcnt(0) lgkmcnt(0)
	s_barrier
	ds_read_b128 v[4:7], v120
	ds_read_b128 v[84:87], v120 offset:5184
	ds_read_b128 v[88:91], v120 offset:10368
	;; [unrolled: 1-line block ×29, first 2 shown]
	global_load_dwordx4 v[130:133], v[122:123], off offset:144
	global_load_dwordx4 v[126:129], v[122:123], off offset:128
	;; [unrolled: 1-line block ×4, first 2 shown]
	s_waitcnt vmcnt(0) lgkmcnt(14)
	v_mul_f64 v[124:125], v[86:87], v[142:143]
	v_fma_f64 v[134:135], v[84:85], v[140:141], -v[124:125]
	buffer_store_dword v140, off, s[36:39], 0 offset:668 ; 4-byte Folded Spill
	s_nop 0
	buffer_store_dword v141, off, s[36:39], 0 offset:672 ; 4-byte Folded Spill
	buffer_store_dword v142, off, s[36:39], 0 offset:676 ; 4-byte Folded Spill
	;; [unrolled: 1-line block ×4, first 2 shown]
	s_nop 0
	buffer_store_dword v137, off, s[36:39], 0 offset:688 ; 4-byte Folded Spill
	buffer_store_dword v138, off, s[36:39], 0 offset:692 ; 4-byte Folded Spill
	;; [unrolled: 1-line block ×3, first 2 shown]
	v_mul_f64 v[84:85], v[84:85], v[142:143]
	v_fma_f64 v[124:125], v[86:87], v[140:141], v[84:85]
	v_mul_f64 v[84:85], v[90:91], v[138:139]
	v_fma_f64 v[148:149], v[88:89], v[136:137], -v[84:85]
	v_mul_f64 v[84:85], v[88:89], v[138:139]
	v_mov_b32_e32 v86, v126
	v_mov_b32_e32 v87, v127
	;; [unrolled: 1-line block ×4, first 2 shown]
	buffer_store_dword v86, off, s[36:39], 0 offset:716 ; 4-byte Folded Spill
	s_nop 0
	buffer_store_dword v87, off, s[36:39], 0 offset:720 ; 4-byte Folded Spill
	buffer_store_dword v88, off, s[36:39], 0 offset:724 ; 4-byte Folded Spill
	;; [unrolled: 1-line block ×4, first 2 shown]
	s_nop 0
	buffer_store_dword v131, off, s[36:39], 0 offset:736 ; 4-byte Folded Spill
	buffer_store_dword v132, off, s[36:39], 0 offset:740 ; 4-byte Folded Spill
	buffer_store_dword v133, off, s[36:39], 0 offset:744 ; 4-byte Folded Spill
	v_fma_f64 v[144:145], v[90:91], v[136:137], v[84:85]
	v_mul_f64 v[84:85], v[94:95], v[88:89]
	v_fma_f64 v[128:129], v[92:93], v[86:87], -v[84:85]
	v_mul_f64 v[84:85], v[92:93], v[88:89]
	v_fma_f64 v[126:127], v[94:95], v[86:87], v[84:85]
	v_mul_f64 v[84:85], v[98:99], v[132:133]
	v_fma_f64 v[150:151], v[96:97], v[130:131], -v[84:85]
	v_mul_f64 v[84:85], v[96:97], v[132:133]
	global_load_dwordx4 v[86:89], v[122:123], off offset:208
	global_load_dwordx4 v[90:93], v[122:123], off offset:192
	;; [unrolled: 1-line block ×4, first 2 shown]
	s_waitcnt vmcnt(0)
	buffer_store_dword v136, off, s[36:39], 0 offset:804 ; 4-byte Folded Spill
	s_nop 0
	buffer_store_dword v137, off, s[36:39], 0 offset:808 ; 4-byte Folded Spill
	buffer_store_dword v138, off, s[36:39], 0 offset:812 ; 4-byte Folded Spill
	buffer_store_dword v139, off, s[36:39], 0 offset:816 ; 4-byte Folded Spill
	buffer_store_dword v94, off, s[36:39], 0 offset:820 ; 4-byte Folded Spill
	s_nop 0
	buffer_store_dword v95, off, s[36:39], 0 offset:824 ; 4-byte Folded Spill
	buffer_store_dword v96, off, s[36:39], 0 offset:828 ; 4-byte Folded Spill
	buffer_store_dword v97, off, s[36:39], 0 offset:832 ; 4-byte Folded Spill
	;; [unrolled: 5-line block ×4, first 2 shown]
	v_fma_f64 v[146:147], v[98:99], v[130:131], v[84:85]
	v_mul_f64 v[84:85], v[102:103], v[138:139]
	v_fma_f64 v[132:133], v[100:101], v[136:137], -v[84:85]
	v_mul_f64 v[84:85], v[100:101], v[138:139]
	v_fma_f64 v[130:131], v[102:103], v[136:137], v[84:85]
	v_mul_f64 v[84:85], v[106:107], v[96:97]
	v_fma_f64 v[156:157], v[104:105], v[94:95], -v[84:85]
	v_mul_f64 v[84:85], v[104:105], v[96:97]
	;; [unrolled: 4-line block ×4, first 2 shown]
	v_fma_f64 v[154:155], v[114:115], v[86:87], v[84:85]
	global_load_dwordx4 v[86:89], v[122:123], off offset:224
	s_waitcnt vmcnt(0)
	buffer_store_dword v86, off, s[36:39], 0 offset:852 ; 4-byte Folded Spill
	s_nop 0
	buffer_store_dword v87, off, s[36:39], 0 offset:856 ; 4-byte Folded Spill
	buffer_store_dword v88, off, s[36:39], 0 offset:860 ; 4-byte Folded Spill
	;; [unrolled: 1-line block ×3, first 2 shown]
	v_mul_f64 v[84:85], v[118:119], v[88:89]
	v_fma_f64 v[142:143], v[116:117], v[86:87], -v[84:85]
	v_mul_f64 v[84:85], v[116:117], v[88:89]
	v_fma_f64 v[140:141], v[118:119], v[86:87], v[84:85]
	v_mul_lo_u16_sdwa v84, v121, v162 dst_sel:DWORD dst_unused:UNUSED_PAD src0_sel:BYTE_0 src1_sel:DWORD
	v_lshrrev_b16_e32 v168, 9, v84
	v_mul_lo_u16_e32 v84, 9, v168
	v_sub_u16_e32 v84, v121, v84
	v_and_b32_e32 v169, 0xff, v84
	v_mad_u64_u32 v[84:85], s[6:7], v169, s8, v[159:160]
	global_load_dwordx4 v[88:91], v[84:85], off offset:144
	global_load_dwordx4 v[92:95], v[84:85], off offset:128
	;; [unrolled: 1-line block ×4, first 2 shown]
	s_mov_b32 s6, 0xe38f
	s_mov_b32 s8, 0x4755a5e
	;; [unrolled: 1-line block ×4, first 2 shown]
	s_waitcnt vmcnt(0)
	v_mul_f64 v[86:87], v[82:83], v[102:103]
	v_fma_f64 v[122:123], v[80:81], v[100:101], -v[86:87]
	buffer_store_dword v100, off, s[36:39], 0 offset:960 ; 4-byte Folded Spill
	s_nop 0
	buffer_store_dword v101, off, s[36:39], 0 offset:964 ; 4-byte Folded Spill
	buffer_store_dword v102, off, s[36:39], 0 offset:968 ; 4-byte Folded Spill
	buffer_store_dword v103, off, s[36:39], 0 offset:972 ; 4-byte Folded Spill
	buffer_store_dword v96, off, s[36:39], 0 offset:992 ; 4-byte Folded Spill
	s_nop 0
	buffer_store_dword v97, off, s[36:39], 0 offset:996 ; 4-byte Folded Spill
	buffer_store_dword v98, off, s[36:39], 0 offset:1000 ; 4-byte Folded Spill
	buffer_store_dword v99, off, s[36:39], 0 offset:1004 ; 4-byte Folded Spill
	;; [unrolled: 5-line block ×4, first 2 shown]
	v_mul_f64 v[80:81], v[80:81], v[102:103]
	v_fma_f64 v[80:81], v[82:83], v[100:101], v[80:81]
	v_mul_f64 v[82:83], v[78:79], v[98:99]
	v_fma_f64 v[82:83], v[76:77], v[96:97], -v[82:83]
	v_mul_f64 v[76:77], v[76:77], v[98:99]
	v_fma_f64 v[78:79], v[78:79], v[96:97], v[76:77]
	v_mul_f64 v[76:77], v[74:75], v[94:95]
	v_fma_f64 v[76:77], v[72:73], v[92:93], -v[76:77]
	v_mul_f64 v[72:73], v[72:73], v[94:95]
	v_fma_f64 v[72:73], v[74:75], v[92:93], v[72:73]
	v_mul_f64 v[74:75], v[70:71], v[90:91]
	v_fma_f64 v[74:75], v[68:69], v[88:89], -v[74:75]
	v_mul_f64 v[68:69], v[68:69], v[90:91]
	v_fma_f64 v[70:71], v[70:71], v[88:89], v[68:69]
	global_load_dwordx4 v[86:89], v[84:85], off offset:208
	global_load_dwordx4 v[90:93], v[84:85], off offset:192
	;; [unrolled: 1-line block ×4, first 2 shown]
	s_waitcnt vmcnt(1)
	buffer_store_dword v94, off, s[36:39], 0 offset:1096 ; 4-byte Folded Spill
	s_nop 0
	buffer_store_dword v95, off, s[36:39], 0 offset:1100 ; 4-byte Folded Spill
	buffer_store_dword v96, off, s[36:39], 0 offset:1104 ; 4-byte Folded Spill
	buffer_store_dword v97, off, s[36:39], 0 offset:1108 ; 4-byte Folded Spill
	buffer_store_dword v90, off, s[36:39], 0 offset:1128 ; 4-byte Folded Spill
	s_nop 0
	buffer_store_dword v91, off, s[36:39], 0 offset:1132 ; 4-byte Folded Spill
	buffer_store_dword v92, off, s[36:39], 0 offset:1136 ; 4-byte Folded Spill
	buffer_store_dword v93, off, s[36:39], 0 offset:1140 ; 4-byte Folded Spill
	;; [unrolled: 5-line block ×3, first 2 shown]
	global_load_dwordx4 v[248:251], v[84:85], off offset:224
	s_waitcnt vmcnt(13)
	v_mul_f64 v[68:69], v[66:67], v[254:255]
	v_fma_f64 v[68:69], v[64:65], v[252:253], -v[68:69]
	v_mul_f64 v[64:65], v[64:65], v[254:255]
	v_fma_f64 v[64:65], v[66:67], v[252:253], v[64:65]
	s_waitcnt lgkmcnt(13)
	v_mul_f64 v[66:67], v[62:63], v[96:97]
	v_fma_f64 v[66:67], v[60:61], v[94:95], -v[66:67]
	v_mul_f64 v[60:61], v[60:61], v[96:97]
	v_fma_f64 v[62:63], v[62:63], v[94:95], v[60:61]
	s_waitcnt lgkmcnt(12)
	;; [unrolled: 5-line block ×3, first 2 shown]
	v_mul_f64 v[58:59], v[54:55], v[88:89]
	v_fma_f64 v[58:59], v[52:53], v[86:87], -v[58:59]
	v_mul_f64 v[52:53], v[52:53], v[88:89]
	v_fma_f64 v[54:55], v[54:55], v[86:87], v[52:53]
	s_waitcnt vmcnt(0) lgkmcnt(10)
	v_mul_f64 v[52:53], v[50:51], v[250:251]
	v_fma_f64 v[52:53], v[48:49], v[248:249], -v[52:53]
	v_mul_f64 v[48:49], v[48:49], v[250:251]
	v_fma_f64 v[48:49], v[50:51], v[248:249], v[48:49]
	v_mul_u32_u24_sdwa v50, v161, s6 dst_sel:DWORD dst_unused:UNUSED_PAD src0_sel:WORD_0 src1_sel:DWORD
	v_lshrrev_b32_e32 v170, 19, v50
	v_mul_lo_u16_e32 v50, 9, v170
	v_sub_u16_e32 v171, v161, v50
	v_mul_lo_u16_e32 v50, 0x90, v171
	v_add_co_u32_e32 v50, vcc, s10, v50
	v_addc_co_u32_e32 v51, vcc, 0, v165, vcc
	global_load_dwordx4 v[244:247], v[50:51], off offset:144
	global_load_dwordx4 v[236:239], v[50:51], off offset:128
	;; [unrolled: 1-line block ×9, first 2 shown]
	s_mov_b32 s6, 0x134454ff
	s_mov_b32 s7, 0x3fee6f0e
	;; [unrolled: 1-line block ×3, first 2 shown]
	s_waitcnt vmcnt(0) lgkmcnt(0)
	s_barrier
	v_cmp_gt_u16_e32 vcc, s11, v175
	v_mul_f64 v[84:85], v[46:47], v[230:231]
	v_fma_f64 v[98:99], v[44:45], v[228:229], -v[84:85]
	v_mul_f64 v[44:45], v[44:45], v[230:231]
	v_fma_f64 v[84:85], v[46:47], v[228:229], v[44:45]
	v_mul_f64 v[44:45], v[42:43], v[234:235]
	v_fma_f64 v[110:111], v[40:41], v[232:233], -v[44:45]
	v_mul_f64 v[40:41], v[40:41], v[234:235]
	v_fma_f64 v[106:107], v[42:43], v[232:233], v[40:41]
	;; [unrolled: 4-line block ×6, first 2 shown]
	v_mul_f64 v[20:21], v[18:19], v[218:219]
	v_fma_f64 v[100:101], v[16:17], v[216:217], -v[20:21]
	v_mul_f64 v[16:17], v[16:17], v[218:219]
	v_add_f64 v[20:21], v[136:137], -v[140:141]
	v_fma_f64 v[94:95], v[18:19], v[216:217], v[16:17]
	v_mul_f64 v[16:17], v[14:15], v[226:227]
	v_add_f64 v[18:19], v[172:173], -v[156:157]
	v_fma_f64 v[96:97], v[12:13], v[224:225], -v[16:17]
	v_mul_f64 v[12:13], v[12:13], v[226:227]
	v_add_f64 v[16:17], v[148:149], -v[150:151]
	v_fma_f64 v[116:117], v[14:15], v[224:225], v[12:13]
	v_mul_f64 v[12:13], v[10:11], v[194:195]
	v_add_f64 v[14:15], v[146:147], -v[152:153]
	v_add_f64 v[16:17], v[16:17], v[18:19]
	v_add_f64 v[18:19], v[140:141], -v[136:137]
	v_fma_f64 v[104:105], v[8:9], v[192:193], -v[12:13]
	v_mul_f64 v[8:9], v[8:9], v[194:195]
	v_fma_f64 v[102:103], v[10:11], v[192:193], v[8:9]
	v_add_f64 v[8:9], v[4:5], v[148:149]
	v_add_f64 v[10:11], v[144:145], -v[154:155]
	v_add_f64 v[8:9], v[8:9], v[150:151]
	v_add_f64 v[8:9], v[8:9], v[156:157]
	v_add_f64 v[28:29], v[8:9], v[172:173]
	v_add_f64 v[8:9], v[150:151], v[156:157]
	v_fma_f64 v[8:9], v[8:9], -0.5, v[4:5]
	v_fma_f64 v[12:13], v[10:11], s[6:7], v[8:9]
	v_fma_f64 v[8:9], v[10:11], s[16:17], v[8:9]
	;; [unrolled: 1-line block ×6, first 2 shown]
	v_add_f64 v[8:9], v[148:149], v[172:173]
	v_add_f64 v[12:13], v[150:151], -v[148:149]
	v_add_f64 v[16:17], v[156:157], -v[172:173]
	v_fma_f64 v[4:5], v[8:9], -0.5, v[4:5]
	v_add_f64 v[12:13], v[12:13], v[16:17]
	v_add_f64 v[16:17], v[154:155], -v[152:153]
	v_fma_f64 v[8:9], v[14:15], s[16:17], v[4:5]
	v_fma_f64 v[4:5], v[14:15], s[6:7], v[4:5]
	v_add_f64 v[14:15], v[144:145], -v[146:147]
	v_fma_f64 v[8:9], v[10:11], s[8:9], v[8:9]
	v_fma_f64 v[4:5], v[10:11], s[18:19], v[4:5]
	v_add_f64 v[14:15], v[14:15], v[16:17]
	v_add_f64 v[16:17], v[138:139], -v[142:143]
	v_fma_f64 v[36:37], v[12:13], s[14:15], v[8:9]
	v_fma_f64 v[46:47], v[12:13], s[14:15], v[4:5]
	v_add_f64 v[4:5], v[6:7], v[144:145]
	v_add_f64 v[8:9], v[148:149], -v[172:173]
	v_add_f64 v[12:13], v[150:151], -v[156:157]
	v_mov_b32_e32 v156, v175
	v_add_f64 v[4:5], v[4:5], v[146:147]
	v_add_f64 v[4:5], v[4:5], v[152:153]
	;; [unrolled: 1-line block ×4, first 2 shown]
	v_fma_f64 v[4:5], v[4:5], -0.5, v[6:7]
	v_fma_f64 v[10:11], v[8:9], s[16:17], v[4:5]
	v_fma_f64 v[4:5], v[8:9], s[6:7], v[4:5]
	v_fma_f64 v[10:11], v[12:13], s[18:19], v[10:11]
	v_fma_f64 v[4:5], v[12:13], s[8:9], v[4:5]
	v_fma_f64 v[148:149], v[14:15], s[14:15], v[10:11]
	v_fma_f64 v[30:31], v[14:15], s[14:15], v[4:5]
	v_add_f64 v[4:5], v[144:145], v[154:155]
	v_add_f64 v[10:11], v[146:147], -v[144:145]
	v_add_f64 v[14:15], v[152:153], -v[154:155]
	v_fma_f64 v[4:5], v[4:5], -0.5, v[6:7]
	v_add_f64 v[10:11], v[10:11], v[14:15]
	v_add_f64 v[14:15], v[142:143], -v[138:139]
	v_fma_f64 v[6:7], v[12:13], s[6:7], v[4:5]
	v_fma_f64 v[4:5], v[12:13], s[16:17], v[4:5]
	v_add_f64 v[12:13], v[128:129], -v[132:133]
	v_fma_f64 v[6:7], v[8:9], s[18:19], v[6:7]
	v_fma_f64 v[4:5], v[8:9], s[8:9], v[4:5]
	v_add_f64 v[12:13], v[12:13], v[14:15]
	v_fma_f64 v[38:39], v[10:11], s[14:15], v[6:7]
	v_fma_f64 v[34:35], v[10:11], s[14:15], v[4:5]
	v_add_f64 v[4:5], v[134:135], v[128:129]
	v_add_f64 v[6:7], v[126:127], -v[140:141]
	v_add_f64 v[10:11], v[130:131], -v[136:137]
	v_add_f64 v[4:5], v[4:5], v[132:133]
	v_add_f64 v[4:5], v[4:5], v[138:139]
	;; [unrolled: 1-line block ×4, first 2 shown]
	v_fma_f64 v[4:5], v[4:5], -0.5, v[134:135]
	v_fma_f64 v[8:9], v[6:7], s[6:7], v[4:5]
	v_fma_f64 v[4:5], v[6:7], s[16:17], v[4:5]
	;; [unrolled: 1-line block ×6, first 2 shown]
	v_add_f64 v[4:5], v[128:129], v[142:143]
	v_add_f64 v[12:13], v[132:133], -v[128:129]
	v_fma_f64 v[4:5], v[4:5], -0.5, v[134:135]
	v_add_f64 v[12:13], v[12:13], v[16:17]
	v_add_f64 v[16:17], v[126:127], -v[130:131]
	v_fma_f64 v[8:9], v[10:11], s[16:17], v[4:5]
	v_fma_f64 v[4:5], v[10:11], s[6:7], v[4:5]
	v_add_f64 v[16:17], v[16:17], v[18:19]
	v_add_f64 v[18:19], v[130:131], -v[126:127]
	v_fma_f64 v[8:9], v[6:7], s[8:9], v[8:9]
	v_fma_f64 v[4:5], v[6:7], s[18:19], v[4:5]
	v_add_f64 v[18:19], v[18:19], v[20:21]
	v_add_f64 v[20:21], v[28:29], v[40:41]
	v_fma_f64 v[134:135], v[12:13], s[14:15], v[8:9]
	v_fma_f64 v[6:7], v[12:13], s[14:15], v[4:5]
	v_add_f64 v[4:5], v[124:125], v[126:127]
	v_add_f64 v[8:9], v[128:129], -v[142:143]
	v_add_f64 v[12:13], v[132:133], -v[138:139]
	v_add_f64 v[4:5], v[4:5], v[130:131]
	v_add_f64 v[4:5], v[4:5], v[136:137]
	;; [unrolled: 1-line block ×5, first 2 shown]
	v_fma_f64 v[4:5], v[4:5], -0.5, v[124:125]
	v_fma_f64 v[10:11], v[8:9], s[16:17], v[4:5]
	v_fma_f64 v[4:5], v[8:9], s[6:7], v[4:5]
	;; [unrolled: 1-line block ×6, first 2 shown]
	v_add_f64 v[4:5], v[126:127], v[140:141]
	v_fma_f64 v[4:5], v[4:5], -0.5, v[124:125]
	v_fma_f64 v[16:17], v[12:13], s[6:7], v[4:5]
	v_fma_f64 v[4:5], v[12:13], s[16:17], v[4:5]
	;; [unrolled: 1-line block ×6, first 2 shown]
	v_mul_f64 v[4:5], v[10:11], s[8:9]
	v_fma_f64 v[130:131], v[14:15], s[20:21], v[4:5]
	v_mul_f64 v[14:15], v[14:15], s[18:19]
	v_mul_f64 v[4:5], v[124:125], s[6:7]
	v_add_f64 v[16:17], v[32:33], v[130:131]
	v_fma_f64 v[140:141], v[10:11], s[20:21], v[14:15]
	v_mul_f64 v[10:11], v[134:135], s[16:17]
	v_fma_f64 v[132:133], v[134:135], s[14:15], v[4:5]
	v_mul_f64 v[4:5], v[6:7], s[22:23]
	v_add_f64 v[134:135], v[58:59], -v[66:67]
	v_add_f64 v[18:19], v[148:149], v[140:141]
	v_fma_f64 v[124:125], v[124:125], s[14:15], v[10:11]
	v_mul_f64 v[10:11], v[126:127], s[22:23]
	v_fma_f64 v[136:137], v[126:127], s[6:7], v[4:5]
	v_mul_f64 v[4:5], v[44:45], s[24:25]
	v_add_f64 v[12:13], v[36:37], v[132:133]
	v_add_f64 v[36:37], v[36:37], -v[132:133]
	v_add_f64 v[132:133], v[82:83], -v[74:75]
	v_add_f64 v[14:15], v[38:39], v[124:125]
	v_fma_f64 v[126:127], v[6:7], s[16:17], v[10:11]
	v_mul_f64 v[6:7], v[128:129], s[24:25]
	v_add_f64 v[8:9], v[46:47], v[136:137]
	v_fma_f64 v[138:139], v[128:129], s[8:9], v[4:5]
	v_add_f64 v[38:39], v[38:39], -v[124:125]
	v_add_f64 v[132:133], v[132:133], v[134:135]
	v_add_f64 v[134:135], v[74:75], -v[82:83]
	v_add_f64 v[10:11], v[34:35], v[126:127]
	v_fma_f64 v[128:129], v[44:45], s[18:19], v[6:7]
	v_add_f64 v[44:45], v[28:29], -v[40:41]
	v_add_f64 v[40:41], v[32:33], -v[130:131]
	;; [unrolled: 1-line block ×4, first 2 shown]
	v_add_f64 v[50:51], v[24:25], v[82:83]
	v_add_f64 v[34:35], v[34:35], -v[126:127]
	v_add_f64 v[126:127], v[78:79], -v[54:55]
	v_add_f64 v[6:7], v[30:31], v[128:129]
	v_add_f64 v[30:31], v[30:31], -v[128:129]
	v_add_f64 v[130:131], v[70:71], -v[62:63]
	;; [unrolled: 1-line block ×3, first 2 shown]
	v_add_f64 v[4:5], v[42:43], v[138:139]
	v_add_f64 v[50:51], v[50:51], v[74:75]
	v_add_f64 v[28:29], v[42:43], -v[138:139]
	v_add_f64 v[42:43], v[148:149], -v[140:141]
	v_add_f64 v[134:135], v[134:135], v[136:137]
	v_add_f64 v[50:51], v[50:51], v[66:67]
	;; [unrolled: 1-line block ×4, first 2 shown]
	v_add_f64 v[74:75], v[74:75], -v[66:67]
	v_add_f64 v[66:67], v[78:79], -v[70:71]
	v_fma_f64 v[50:51], v[50:51], -0.5, v[24:25]
	v_fma_f64 v[128:129], v[126:127], s[6:7], v[50:51]
	v_fma_f64 v[50:51], v[126:127], s[16:17], v[50:51]
	;; [unrolled: 1-line block ×6, first 2 shown]
	v_add_f64 v[50:51], v[82:83], v[58:59]
	v_fma_f64 v[24:25], v[50:51], -0.5, v[24:25]
	v_fma_f64 v[50:51], v[130:131], s[16:17], v[24:25]
	v_fma_f64 v[24:25], v[130:131], s[6:7], v[24:25]
	;; [unrolled: 1-line block ×6, first 2 shown]
	v_add_f64 v[24:25], v[26:27], v[78:79]
	v_add_f64 v[50:51], v[82:83], -v[58:59]
	v_add_f64 v[82:83], v[54:55], -v[62:63]
	v_add_f64 v[24:25], v[24:25], v[70:71]
	v_add_f64 v[66:67], v[66:67], v[82:83]
	v_add_f64 v[82:83], v[60:61], -v[52:53]
	v_add_f64 v[24:25], v[24:25], v[62:63]
	v_add_f64 v[130:131], v[24:25], v[54:55]
	;; [unrolled: 1-line block ×3, first 2 shown]
	v_fma_f64 v[24:25], v[24:25], -0.5, v[26:27]
	v_fma_f64 v[58:59], v[50:51], s[16:17], v[24:25]
	v_fma_f64 v[24:25], v[50:51], s[6:7], v[24:25]
	v_fma_f64 v[58:59], v[74:75], s[18:19], v[58:59]
	v_fma_f64 v[24:25], v[74:75], s[8:9], v[24:25]
	v_fma_f64 v[134:135], v[66:67], s[14:15], v[58:59]
	v_fma_f64 v[66:67], v[66:67], s[14:15], v[24:25]
	v_add_f64 v[24:25], v[78:79], v[54:55]
	v_add_f64 v[58:59], v[70:71], -v[78:79]
	v_add_f64 v[54:55], v[62:63], -v[54:55]
	;; [unrolled: 1-line block ×3, first 2 shown]
	v_fma_f64 v[24:25], v[24:25], -0.5, v[26:27]
	v_add_f64 v[54:55], v[58:59], v[54:55]
	v_add_f64 v[58:59], v[76:77], -v[68:69]
	v_fma_f64 v[26:27], v[74:75], s[6:7], v[24:25]
	v_fma_f64 v[24:25], v[74:75], s[16:17], v[24:25]
	v_add_f64 v[58:59], v[58:59], v[62:63]
	v_add_f64 v[62:63], v[68:69], -v[76:77]
	v_fma_f64 v[26:27], v[50:51], s[18:19], v[26:27]
	v_fma_f64 v[24:25], v[50:51], s[8:9], v[24:25]
	v_add_f64 v[62:63], v[62:63], v[82:83]
	v_fma_f64 v[138:139], v[54:55], s[14:15], v[26:27]
	v_fma_f64 v[70:71], v[54:55], s[14:15], v[24:25]
	v_add_f64 v[24:25], v[122:123], v[76:77]
	v_add_f64 v[26:27], v[72:73], -v[48:49]
	v_add_f64 v[54:55], v[64:65], -v[56:57]
	v_add_f64 v[24:25], v[24:25], v[68:69]
	v_add_f64 v[24:25], v[24:25], v[60:61]
	v_add_f64 v[74:75], v[24:25], v[52:53]
	v_add_f64 v[24:25], v[68:69], v[60:61]
	v_fma_f64 v[24:25], v[24:25], -0.5, v[122:123]
	v_fma_f64 v[50:51], v[26:27], s[6:7], v[24:25]
	v_fma_f64 v[24:25], v[26:27], s[16:17], v[24:25]
	;; [unrolled: 1-line block ×6, first 2 shown]
	v_add_f64 v[24:25], v[76:77], v[52:53]
	v_add_f64 v[52:53], v[76:77], -v[52:53]
	v_fma_f64 v[24:25], v[24:25], -0.5, v[122:123]
	v_fma_f64 v[58:59], v[54:55], s[16:17], v[24:25]
	v_fma_f64 v[24:25], v[54:55], s[6:7], v[24:25]
	;; [unrolled: 1-line block ×6, first 2 shown]
	v_add_f64 v[24:25], v[80:81], v[72:73]
	v_add_f64 v[58:59], v[68:69], -v[60:61]
	v_add_f64 v[60:61], v[72:73], -v[64:65]
	;; [unrolled: 1-line block ×3, first 2 shown]
	v_add_f64 v[24:25], v[24:25], v[64:65]
	v_add_f64 v[60:61], v[60:61], v[62:63]
	v_add_f64 v[62:63], v[64:65], -v[72:73]
	v_add_f64 v[24:25], v[24:25], v[56:57]
	v_add_f64 v[122:123], v[24:25], v[48:49]
	;; [unrolled: 1-line block ×3, first 2 shown]
	v_fma_f64 v[24:25], v[24:25], -0.5, v[80:81]
	v_fma_f64 v[54:55], v[52:53], s[16:17], v[24:25]
	v_fma_f64 v[24:25], v[52:53], s[6:7], v[24:25]
	;; [unrolled: 1-line block ×6, first 2 shown]
	v_add_f64 v[24:25], v[72:73], v[48:49]
	v_add_f64 v[48:49], v[56:57], -v[48:49]
	v_fma_f64 v[24:25], v[24:25], -0.5, v[80:81]
	v_add_f64 v[48:49], v[62:63], v[48:49]
	v_add_f64 v[80:81], v[124:125], -v[74:75]
	v_add_f64 v[62:63], v[130:131], v[122:123]
	v_fma_f64 v[60:61], v[58:59], s[6:7], v[24:25]
	v_fma_f64 v[24:25], v[58:59], s[16:17], v[24:25]
	;; [unrolled: 1-line block ×6, first 2 shown]
	v_mul_f64 v[24:25], v[54:55], s[8:9]
	v_add_f64 v[60:61], v[124:125], v[74:75]
	v_add_f64 v[124:125], v[112:113], v[118:119]
	v_fma_f64 v[76:77], v[50:51], s[20:21], v[24:25]
	v_mul_f64 v[24:25], v[64:65], s[6:7]
	v_mul_f64 v[50:51], v[50:51], s[18:19]
	v_fma_f64 v[124:125], v[124:125], -0.5, v[0:1]
	v_add_f64 v[56:57], v[128:129], v[76:77]
	v_fma_f64 v[140:141], v[82:83], s[14:15], v[24:25]
	v_mul_f64 v[24:25], v[26:27], s[22:23]
	v_fma_f64 v[146:147], v[54:55], s[20:21], v[50:51]
	v_mul_f64 v[50:51], v[82:83], s[16:17]
	v_add_f64 v[76:77], v[128:129], -v[76:77]
	v_add_f64 v[82:83], v[130:131], -v[122:123]
	;; [unrolled: 1-line block ×3, first 2 shown]
	v_add_f64 v[122:123], v[0:1], v[110:111]
	v_add_f64 v[52:53], v[136:137], v[140:141]
	v_fma_f64 v[142:143], v[72:73], s[6:7], v[24:25]
	v_mul_f64 v[24:25], v[78:79], s[24:25]
	v_fma_f64 v[148:149], v[64:65], s[14:15], v[50:51]
	v_mul_f64 v[50:51], v[72:73], s[22:23]
	v_add_f64 v[58:59], v[134:135], v[146:147]
	v_add_f64 v[72:73], v[136:137], -v[140:141]
	v_add_f64 v[136:137], v[118:119], -v[96:97]
	v_add_f64 v[122:123], v[122:123], v[112:113]
	v_add_f64 v[48:49], v[126:127], v[142:143]
	v_fma_f64 v[144:145], v[68:69], s[8:9], v[24:25]
	v_add_f64 v[54:55], v[138:139], v[148:149]
	v_fma_f64 v[150:151], v[26:27], s[16:17], v[50:51]
	v_mul_f64 v[26:27], v[68:69], s[24:25]
	v_add_f64 v[68:69], v[126:127], -v[142:143]
	v_add_f64 v[126:127], v[106:107], -v[116:117]
	v_add_f64 v[122:123], v[122:123], v[118:119]
	v_add_f64 v[74:75], v[138:139], -v[148:149]
	v_add_f64 v[24:25], v[132:133], v[144:145]
	v_add_f64 v[64:65], v[132:133], -v[144:145]
	v_add_f64 v[132:133], v[110:111], -v[112:113]
	v_fma_f64 v[152:153], v[78:79], s[18:19], v[26:27]
	v_add_f64 v[78:79], v[134:135], -v[146:147]
	v_fma_f64 v[128:129], v[126:127], s[6:7], v[124:125]
	;; [unrolled: 2-line block ×3, first 2 shown]
	v_add_f64 v[122:123], v[122:123], v[96:97]
	v_add_f64 v[50:51], v[70:71], v[150:151]
	v_add_f64 v[70:71], v[70:71], -v[150:151]
	v_add_f64 v[26:27], v[66:67], v[152:153]
	v_add_f64 v[66:67], v[66:67], -v[152:153]
	v_fma_f64 v[128:129], v[130:131], s[8:9], v[128:129]
	v_add_f64 v[132:133], v[132:133], v[134:135]
	v_fma_f64 v[124:125], v[130:131], s[18:19], v[124:125]
	v_add_f64 v[134:135], v[112:113], -v[110:111]
	v_add_f64 v[112:113], v[112:113], -v[118:119]
	;; [unrolled: 1-line block ×3, first 2 shown]
	v_fma_f64 v[128:129], v[132:133], s[14:15], v[128:129]
	v_fma_f64 v[124:125], v[132:133], s[14:15], v[124:125]
	v_add_f64 v[132:133], v[110:111], v[96:97]
	v_add_f64 v[134:135], v[134:135], v[136:137]
	v_add_f64 v[96:97], v[110:111], -v[96:97]
	v_add_f64 v[136:137], v[100:101], -v[104:105]
	v_fma_f64 v[0:1], v[132:133], -0.5, v[0:1]
	v_fma_f64 v[132:133], v[130:131], s[16:17], v[0:1]
	v_fma_f64 v[0:1], v[130:131], s[6:7], v[0:1]
	;; [unrolled: 1-line block ×6, first 2 shown]
	v_add_f64 v[0:1], v[2:3], v[106:107]
	v_add_f64 v[134:135], v[116:117], -v[114:115]
	v_add_f64 v[0:1], v[0:1], v[108:109]
	v_add_f64 v[118:119], v[118:119], v[134:135]
	v_add_f64 v[134:135], v[104:105], -v[100:101]
	v_add_f64 v[0:1], v[0:1], v[114:115]
	v_add_f64 v[130:131], v[0:1], v[116:117]
	;; [unrolled: 1-line block ×3, first 2 shown]
	v_fma_f64 v[0:1], v[0:1], -0.5, v[2:3]
	v_fma_f64 v[110:111], v[96:97], s[16:17], v[0:1]
	v_fma_f64 v[0:1], v[96:97], s[6:7], v[0:1]
	;; [unrolled: 1-line block ×6, first 2 shown]
	v_add_f64 v[118:119], v[106:107], v[116:117]
	v_add_f64 v[106:107], v[108:109], -v[106:107]
	v_add_f64 v[108:109], v[114:115], -v[116:117]
	;; [unrolled: 1-line block ×3, first 2 shown]
	v_fma_f64 v[2:3], v[118:119], -0.5, v[2:3]
	v_add_f64 v[106:107], v[106:107], v[108:109]
	v_add_f64 v[108:109], v[86:87], -v[102:103]
	v_fma_f64 v[118:119], v[112:113], s[6:7], v[2:3]
	v_fma_f64 v[2:3], v[112:113], s[16:17], v[2:3]
	;; [unrolled: 1-line block ×4, first 2 shown]
	v_add_f64 v[96:97], v[98:99], v[88:89]
	v_fma_f64 v[114:115], v[106:107], s[14:15], v[118:119]
	v_fma_f64 v[2:3], v[106:107], s[14:15], v[2:3]
	v_add_f64 v[96:97], v[96:97], v[92:93]
	v_add_f64 v[118:119], v[88:89], -v[92:93]
	v_add_f64 v[96:97], v[96:97], v[100:101]
	v_add_f64 v[118:119], v[118:119], v[134:135]
	v_add_f64 v[134:135], v[92:93], -v[88:89]
	v_add_f64 v[106:107], v[96:97], v[104:105]
	v_add_f64 v[96:97], v[92:93], v[100:101]
	;; [unrolled: 1-line block ×3, first 2 shown]
	v_add_f64 v[92:93], v[92:93], -v[100:101]
	v_fma_f64 v[96:97], v[96:97], -0.5, v[98:99]
	v_fma_f64 v[112:113], v[108:109], s[6:7], v[96:97]
	v_fma_f64 v[96:97], v[108:109], s[16:17], v[96:97]
	;; [unrolled: 1-line block ×6, first 2 shown]
	v_add_f64 v[96:97], v[88:89], v[104:105]
	v_add_f64 v[88:89], v[88:89], -v[104:105]
	v_fma_f64 v[96:97], v[96:97], -0.5, v[98:99]
	v_fma_f64 v[98:99], v[116:117], s[16:17], v[96:97]
	v_fma_f64 v[96:97], v[116:117], s[6:7], v[96:97]
	v_add_f64 v[116:117], v[102:103], -v[94:95]
	v_fma_f64 v[98:99], v[108:109], s[8:9], v[98:99]
	v_fma_f64 v[96:97], v[108:109], s[18:19], v[96:97]
	;; [unrolled: 1-line block ×4, first 2 shown]
	v_add_f64 v[96:97], v[84:85], v[86:87]
	v_add_f64 v[96:97], v[96:97], v[90:91]
	;; [unrolled: 1-line block ×5, first 2 shown]
	v_fma_f64 v[96:97], v[96:97], -0.5, v[84:85]
	v_fma_f64 v[104:105], v[88:89], s[16:17], v[96:97]
	v_fma_f64 v[96:97], v[88:89], s[6:7], v[96:97]
	;; [unrolled: 1-line block ×3, first 2 shown]
	v_add_f64 v[104:105], v[86:87], -v[90:91]
	v_fma_f64 v[96:97], v[92:93], s[8:9], v[96:97]
	v_add_f64 v[104:105], v[104:105], v[116:117]
	v_fma_f64 v[116:117], v[104:105], s[14:15], v[100:101]
	v_fma_f64 v[104:105], v[104:105], s[14:15], v[96:97]
	v_add_f64 v[96:97], v[86:87], v[102:103]
	v_add_f64 v[86:87], v[90:91], -v[86:87]
	v_add_f64 v[90:91], v[94:95], -v[102:103]
	v_fma_f64 v[84:85], v[96:97], -0.5, v[84:85]
	v_add_f64 v[86:87], v[86:87], v[90:91]
	v_mul_f64 v[90:91], v[112:113], s[18:19]
	v_fma_f64 v[96:97], v[92:93], s[6:7], v[84:85]
	v_fma_f64 v[84:85], v[92:93], s[16:17], v[84:85]
	;; [unrolled: 1-line block ×5, first 2 shown]
	v_add_f64 v[90:91], v[110:111], v[144:145]
	v_add_f64 v[110:111], v[110:111], -v[144:145]
	v_fma_f64 v[94:95], v[86:87], s[14:15], v[96:97]
	v_fma_f64 v[102:103], v[86:87], s[14:15], v[84:85]
	v_mul_f64 v[86:87], v[116:117], s[8:9]
	v_add_f64 v[84:85], v[122:123], v[106:107]
	v_fma_f64 v[136:137], v[112:113], s[20:21], v[86:87]
	v_mul_f64 v[86:87], v[94:95], s[6:7]
	v_add_f64 v[88:89], v[128:129], v[136:137]
	v_fma_f64 v[138:139], v[98:99], s[14:15], v[86:87]
	v_mul_f64 v[98:99], v[98:99], s[16:17]
	v_mul_f64 v[86:87], v[108:109], s[22:23]
	v_add_f64 v[92:93], v[132:133], v[138:139]
	v_fma_f64 v[146:147], v[94:95], s[14:15], v[98:99]
	v_mul_f64 v[98:99], v[102:103], s[22:23]
	v_fma_f64 v[140:141], v[102:103], s[6:7], v[86:87]
	v_mul_f64 v[86:87], v[118:119], s[24:25]
	v_mul_f64 v[102:103], v[104:105], s[24:25]
	v_add_f64 v[112:113], v[132:133], -v[138:139]
	v_add_f64 v[94:95], v[114:115], v[146:147]
	v_fma_f64 v[148:149], v[108:109], s[16:17], v[98:99]
	v_add_f64 v[96:97], v[126:127], v[140:141]
	v_fma_f64 v[142:143], v[104:105], s[8:9], v[86:87]
	v_fma_f64 v[150:151], v[118:119], s[18:19], v[102:103]
	v_add_f64 v[86:87], v[130:131], v[134:135]
	v_add_f64 v[104:105], v[122:123], -v[106:107]
	v_add_f64 v[106:107], v[130:131], -v[134:135]
	;; [unrolled: 1-line block ×3, first 2 shown]
	v_add_f64 v[98:99], v[2:3], v[148:149]
	v_add_f64 v[114:115], v[114:115], -v[146:147]
	v_add_f64 v[100:101], v[124:125], v[142:143]
	v_add_f64 v[102:103], v[0:1], v[150:151]
	v_add_f64 v[122:123], v[124:125], -v[142:143]
	v_add_f64 v[124:125], v[0:1], -v[150:151]
	v_mul_u32_u24_e32 v0, 0x5a, v166
	v_add_lshl_u32 v152, v0, v167, 4
	v_mul_u32_u24_e32 v0, 0x5a, v168
	v_add_lshl_u32 v153, v0, v169, 4
	v_mad_legacy_u16 v0, v170, s11, v171
	v_lshlrev_b32_e32 v162, 4, v0
	v_add_f64 v[116:117], v[126:127], -v[140:141]
	v_add_f64 v[118:119], v[2:3], -v[148:149]
	ds_write_b128 v152, v[20:23]
	ds_write_b128 v152, v[16:19] offset:144
	ds_write_b128 v152, v[12:15] offset:288
	ds_write_b128 v152, v[8:11] offset:432
	ds_write_b128 v152, v[4:7] offset:576
	ds_write_b128 v152, v[44:47] offset:720
	ds_write_b128 v152, v[40:43] offset:864
	ds_write_b128 v152, v[36:39] offset:1008
	ds_write_b128 v152, v[32:35] offset:1152
	ds_write_b128 v152, v[28:31] offset:1296
	ds_write_b128 v153, v[60:63]
	ds_write_b128 v153, v[56:59] offset:144
	ds_write_b128 v153, v[52:55] offset:288
	ds_write_b128 v153, v[48:51] offset:432
	ds_write_b128 v153, v[24:27] offset:576
	ds_write_b128 v153, v[80:83] offset:720
	ds_write_b128 v153, v[76:79] offset:864
	ds_write_b128 v153, v[72:75] offset:1008
	ds_write_b128 v153, v[68:71] offset:1152
	ds_write_b128 v153, v[64:67] offset:1296
	;; [unrolled: 10-line block ×3, first 2 shown]
	v_add_u32_e32 v122, 0xffffffa6, v175
	v_cndmask_b32_e32 v146, v122, v175, vcc
	v_mul_i32_i24_e32 v122, 0x50, v146
	v_mul_hi_i32_i24_e32 v123, 0x50, v146
	v_add_co_u32_e32 v122, vcc, s10, v122
	v_addc_co_u32_e32 v123, vcc, v165, v123, vcc
	s_waitcnt lgkmcnt(0)
	s_barrier
	ds_read_b128 v[16:19], v120
	ds_read_b128 v[96:99], v120 offset:8640
	ds_read_b128 v[100:103], v120 offset:17280
	;; [unrolled: 1-line block ×29, first 2 shown]
	global_load_dwordx4 v[126:129], v[122:123], off offset:1440
	global_load_dwordx4 v[130:133], v[122:123], off offset:1424
	;; [unrolled: 1-line block ×4, first 2 shown]
	s_waitcnt vmcnt(0)
	buffer_store_dword v138, off, s[36:39], 0 offset:1144 ; 4-byte Folded Spill
	s_nop 0
	buffer_store_dword v139, off, s[36:39], 0 offset:1148 ; 4-byte Folded Spill
	buffer_store_dword v140, off, s[36:39], 0 offset:1152 ; 4-byte Folded Spill
	buffer_store_dword v141, off, s[36:39], 0 offset:1156 ; 4-byte Folded Spill
	buffer_store_dword v134, off, s[36:39], 0 offset:1160 ; 4-byte Folded Spill
	s_nop 0
	buffer_store_dword v135, off, s[36:39], 0 offset:1164 ; 4-byte Folded Spill
	buffer_store_dword v136, off, s[36:39], 0 offset:1168 ; 4-byte Folded Spill
	buffer_store_dword v137, off, s[36:39], 0 offset:1172 ; 4-byte Folded Spill
	;; [unrolled: 5-line block ×4, first 2 shown]
	s_movk_i32 s11, 0x50
	s_waitcnt lgkmcnt(14)
	v_mul_f64 v[124:125], v[98:99], v[140:141]
	v_fma_f64 v[168:169], v[96:97], v[138:139], -v[124:125]
	v_mul_f64 v[96:97], v[96:97], v[140:141]
	v_fma_f64 v[144:145], v[98:99], v[138:139], v[96:97]
	v_mul_f64 v[96:97], v[102:103], v[136:137]
	v_fma_f64 v[170:171], v[100:101], v[134:135], -v[96:97]
	v_mul_f64 v[96:97], v[100:101], v[136:137]
	global_load_dwordx4 v[98:101], v[122:123], off offset:1456
	s_waitcnt vmcnt(0)
	buffer_store_dword v98, off, s[36:39], 0 offset:1192 ; 4-byte Folded Spill
	s_nop 0
	buffer_store_dword v99, off, s[36:39], 0 offset:1196 ; 4-byte Folded Spill
	buffer_store_dword v100, off, s[36:39], 0 offset:1200 ; 4-byte Folded Spill
	;; [unrolled: 1-line block ×3, first 2 shown]
	v_fma_f64 v[176:177], v[102:103], v[134:135], v[96:97]
	v_mul_f64 v[96:97], v[106:107], v[132:133]
	v_fma_f64 v[178:179], v[104:105], v[130:131], -v[96:97]
	v_mul_f64 v[96:97], v[104:105], v[132:133]
	v_fma_f64 v[184:185], v[106:107], v[130:131], v[96:97]
	v_mul_f64 v[96:97], v[110:111], v[128:129]
	v_fma_f64 v[186:187], v[108:109], v[126:127], -v[96:97]
	v_mul_f64 v[96:97], v[108:109], v[128:129]
	;; [unrolled: 4-line block ×3, first 2 shown]
	v_fma_f64 v[204:205], v[114:115], v[98:99], v[96:97]
	v_mul_lo_u16_sdwa v96, v121, s33 dst_sel:DWORD dst_unused:UNUSED_PAD src0_sel:BYTE_0 src1_sel:DWORD
	v_lshrrev_b16_e32 v147, 14, v96
	v_mul_lo_u16_e32 v96, 0x5a, v147
	v_sub_u16_e32 v96, v121, v96
	v_and_b32_e32 v121, 0xff, v96
	v_mad_u64_u32 v[96:97], s[34:35], v121, s11, v[159:160]
	global_load_dwordx4 v[100:103], v[96:97], off offset:1440
	global_load_dwordx4 v[104:107], v[96:97], off offset:1424
	;; [unrolled: 1-line block ×4, first 2 shown]
	s_waitcnt vmcnt(0)
	buffer_store_dword v112, off, s[36:39], 0 offset:1224 ; 4-byte Folded Spill
	s_nop 0
	buffer_store_dword v113, off, s[36:39], 0 offset:1228 ; 4-byte Folded Spill
	buffer_store_dword v114, off, s[36:39], 0 offset:1232 ; 4-byte Folded Spill
	buffer_store_dword v115, off, s[36:39], 0 offset:1236 ; 4-byte Folded Spill
	buffer_store_dword v108, off, s[36:39], 0 offset:1240 ; 4-byte Folded Spill
	s_nop 0
	buffer_store_dword v109, off, s[36:39], 0 offset:1244 ; 4-byte Folded Spill
	buffer_store_dword v110, off, s[36:39], 0 offset:1248 ; 4-byte Folded Spill
	buffer_store_dword v111, off, s[36:39], 0 offset:1252 ; 4-byte Folded Spill
	;; [unrolled: 5-line block ×4, first 2 shown]
	s_movk_i32 s33, 0x2d83
	v_mul_f64 v[98:99], v[118:119], v[114:115]
	v_fma_f64 v[128:129], v[116:117], v[112:113], -v[98:99]
	v_mul_f64 v[98:99], v[116:117], v[114:115]
	v_fma_f64 v[122:123], v[118:119], v[112:113], v[98:99]
	v_mul_f64 v[98:99], v[94:95], v[110:111]
	v_fma_f64 v[132:133], v[92:93], v[108:109], -v[98:99]
	v_mul_f64 v[92:93], v[92:93], v[110:111]
	v_fma_f64 v[136:137], v[94:95], v[108:109], v[92:93]
	;; [unrolled: 4-line block ×4, first 2 shown]
	global_load_dwordx4 v[86:89], v[96:97], off offset:1456
	s_waitcnt vmcnt(0)
	v_mul_f64 v[84:85], v[82:83], v[88:89]
	v_fma_f64 v[134:135], v[80:81], v[86:87], -v[84:85]
	buffer_store_dword v86, off, s[36:39], 0 offset:1288 ; 4-byte Folded Spill
	s_nop 0
	buffer_store_dword v87, off, s[36:39], 0 offset:1292 ; 4-byte Folded Spill
	buffer_store_dword v88, off, s[36:39], 0 offset:1296 ; 4-byte Folded Spill
	;; [unrolled: 1-line block ×3, first 2 shown]
	v_mul_f64 v[80:81], v[80:81], v[88:89]
	v_fma_f64 v[138:139], v[82:83], v[86:87], v[80:81]
	v_mul_u32_u24_sdwa v80, v161, s33 dst_sel:DWORD dst_unused:UNUSED_PAD src0_sel:WORD_0 src1_sel:DWORD
	v_lshrrev_b32_e32 v148, 20, v80
	v_mul_lo_u16_e32 v80, 0x5a, v148
	v_sub_u16_e32 v149, v161, v80
	v_mul_lo_u16_e32 v80, 0x50, v149
	v_add_co_u32_e32 v80, vcc, s10, v80
	v_addc_co_u32_e32 v81, vcc, 0, v165, vcc
	global_load_dwordx4 v[84:87], v[80:81], off offset:1440
	global_load_dwordx4 v[88:91], v[80:81], off offset:1424
	;; [unrolled: 1-line block ×4, first 2 shown]
	s_waitcnt vmcnt(0)
	v_mul_f64 v[82:83], v[78:79], v[100:101]
	v_fma_f64 v[96:97], v[76:77], v[98:99], -v[82:83]
	buffer_store_dword v98, off, s[36:39], 0 offset:1308 ; 4-byte Folded Spill
	s_nop 0
	buffer_store_dword v99, off, s[36:39], 0 offset:1312 ; 4-byte Folded Spill
	buffer_store_dword v100, off, s[36:39], 0 offset:1316 ; 4-byte Folded Spill
	buffer_store_dword v101, off, s[36:39], 0 offset:1320 ; 4-byte Folded Spill
	buffer_store_dword v92, off, s[36:39], 0 offset:1324 ; 4-byte Folded Spill
	s_nop 0
	buffer_store_dword v93, off, s[36:39], 0 offset:1328 ; 4-byte Folded Spill
	buffer_store_dword v94, off, s[36:39], 0 offset:1332 ; 4-byte Folded Spill
	buffer_store_dword v95, off, s[36:39], 0 offset:1336 ; 4-byte Folded Spill
	;; [unrolled: 5-line block ×4, first 2 shown]
	global_load_dwordx4 v[80:83], v[80:81], off offset:1456
	s_waitcnt vmcnt(0)
	buffer_store_dword v80, off, s[36:39], 0 offset:1356 ; 4-byte Folded Spill
	s_nop 0
	buffer_store_dword v81, off, s[36:39], 0 offset:1360 ; 4-byte Folded Spill
	buffer_store_dword v82, off, s[36:39], 0 offset:1364 ; 4-byte Folded Spill
	buffer_store_dword v83, off, s[36:39], 0 offset:1368 ; 4-byte Folded Spill
	v_mul_f64 v[76:77], v[76:77], v[100:101]
	v_fma_f64 v[76:77], v[78:79], v[98:99], v[76:77]
	v_mul_f64 v[78:79], v[74:75], v[94:95]
	v_fma_f64 v[78:79], v[72:73], v[92:93], -v[78:79]
	v_mul_f64 v[72:73], v[72:73], v[94:95]
	v_fma_f64 v[74:75], v[74:75], v[92:93], v[72:73]
	v_mul_f64 v[72:73], v[70:71], v[90:91]
	v_fma_f64 v[72:73], v[68:69], v[88:89], -v[72:73]
	v_mul_f64 v[68:69], v[68:69], v[90:91]
	v_fma_f64 v[68:69], v[70:71], v[88:89], v[68:69]
	s_waitcnt lgkmcnt(13)
	v_mul_f64 v[70:71], v[66:67], v[86:87]
	v_fma_f64 v[70:71], v[64:65], v[84:85], -v[70:71]
	v_mul_f64 v[64:65], v[64:65], v[86:87]
	v_fma_f64 v[66:67], v[66:67], v[84:85], v[64:65]
	s_waitcnt lgkmcnt(12)
	v_mul_f64 v[64:65], v[62:63], v[82:83]
	v_fma_f64 v[64:65], v[60:61], v[80:81], -v[64:65]
	v_mul_f64 v[60:61], v[60:61], v[82:83]
	v_fma_f64 v[60:61], v[62:63], v[80:81], v[60:61]
	v_mul_u32_u24_sdwa v62, v174, s33 dst_sel:DWORD dst_unused:UNUSED_PAD src0_sel:WORD_0 src1_sel:DWORD
	v_lshrrev_b32_e32 v150, 20, v62
	v_mul_lo_u16_e32 v62, 0x5a, v150
	v_sub_u16_e32 v151, v174, v62
	v_mul_lo_u16_e32 v62, 0x50, v151
	v_add_co_u32_e32 v62, vcc, s10, v62
	v_addc_co_u32_e32 v63, vcc, 0, v165, vcc
	global_load_dwordx4 v[82:85], v[62:63], off offset:1440
	global_load_dwordx4 v[86:89], v[62:63], off offset:1424
	;; [unrolled: 1-line block ×4, first 2 shown]
	s_waitcnt vmcnt(0) lgkmcnt(10)
	v_mul_f64 v[80:81], v[58:59], v[100:101]
	v_fma_f64 v[106:107], v[56:57], v[98:99], -v[80:81]
	buffer_store_dword v98, off, s[36:39], 0 offset:1532 ; 4-byte Folded Spill
	s_nop 0
	buffer_store_dword v99, off, s[36:39], 0 offset:1536 ; 4-byte Folded Spill
	buffer_store_dword v100, off, s[36:39], 0 offset:1540 ; 4-byte Folded Spill
	buffer_store_dword v101, off, s[36:39], 0 offset:1544 ; 4-byte Folded Spill
	buffer_store_dword v90, off, s[36:39], 0 offset:1548 ; 4-byte Folded Spill
	s_nop 0
	buffer_store_dword v91, off, s[36:39], 0 offset:1552 ; 4-byte Folded Spill
	buffer_store_dword v92, off, s[36:39], 0 offset:1556 ; 4-byte Folded Spill
	buffer_store_dword v93, off, s[36:39], 0 offset:1560 ; 4-byte Folded Spill
	;; [unrolled: 5-line block ×4, first 2 shown]
	v_mul_f64 v[56:57], v[56:57], v[100:101]
	v_fma_f64 v[102:103], v[58:59], v[98:99], v[56:57]
	s_waitcnt lgkmcnt(9)
	v_mul_f64 v[56:57], v[54:55], v[92:93]
	v_fma_f64 v[110:111], v[52:53], v[90:91], -v[56:57]
	v_mul_f64 v[52:53], v[52:53], v[92:93]
	v_fma_f64 v[114:115], v[54:55], v[90:91], v[52:53]
	s_waitcnt lgkmcnt(8)
	v_mul_f64 v[52:53], v[50:51], v[88:89]
	v_fma_f64 v[104:105], v[48:49], v[86:87], -v[52:53]
	;; [unrolled: 5-line block ×3, first 2 shown]
	v_mul_f64 v[44:45], v[44:45], v[84:85]
	v_fma_f64 v[124:125], v[46:47], v[82:83], v[44:45]
	global_load_dwordx4 v[46:49], v[62:63], off offset:1456
	s_waitcnt vmcnt(0) lgkmcnt(6)
	v_mul_f64 v[44:45], v[42:43], v[48:49]
	v_fma_f64 v[112:113], v[40:41], v[46:47], -v[44:45]
	buffer_store_dword v46, off, s[36:39], 0 offset:1600 ; 4-byte Folded Spill
	s_nop 0
	buffer_store_dword v47, off, s[36:39], 0 offset:1604 ; 4-byte Folded Spill
	buffer_store_dword v48, off, s[36:39], 0 offset:1608 ; 4-byte Folded Spill
	;; [unrolled: 1-line block ×3, first 2 shown]
	v_mul_f64 v[40:41], v[40:41], v[48:49]
	v_fma_f64 v[116:117], v[42:43], v[46:47], v[40:41]
	v_mul_u32_u24_sdwa v40, v164, s33 dst_sel:DWORD dst_unused:UNUSED_PAD src0_sel:WORD_0 src1_sel:DWORD
	v_lshrrev_b32_e32 v154, 20, v40
	v_mul_lo_u16_e32 v40, 0x5a, v154
	v_sub_u16_e32 v155, v164, v40
	v_mul_lo_u16_e32 v40, 0x50, v155
	v_add_co_u32_e32 v40, vcc, s10, v40
	v_addc_co_u32_e32 v41, vcc, 0, v165, vcc
	global_load_dwordx4 v[44:47], v[40:41], off offset:1440
	global_load_dwordx4 v[196:199], v[40:41], off offset:1424
	;; [unrolled: 1-line block ×4, first 2 shown]
	s_waitcnt vmcnt(3)
	buffer_store_dword v44, off, s[36:39], 0 offset:1680 ; 4-byte Folded Spill
	s_nop 0
	buffer_store_dword v45, off, s[36:39], 0 offset:1684 ; 4-byte Folded Spill
	buffer_store_dword v46, off, s[36:39], 0 offset:1688 ; 4-byte Folded Spill
	;; [unrolled: 1-line block ×3, first 2 shown]
	global_load_dwordx4 v[164:167], v[40:41], off offset:1456
	s_movk_i32 s10, 0x59
	s_waitcnt vmcnt(5) lgkmcnt(4)
	v_mul_f64 v[42:43], v[38:39], v[174:175]
	v_cmp_lt_u16_e32 vcc, s10, v156
	s_waitcnt vmcnt(0) lgkmcnt(0)
	s_barrier
	v_fma_f64 v[84:85], v[36:37], v[172:173], -v[42:43]
	v_mul_f64 v[36:37], v[36:37], v[174:175]
	v_fma_f64 v[80:81], v[38:39], v[172:173], v[36:37]
	v_mul_f64 v[36:37], v[34:35], v[182:183]
	v_fma_f64 v[92:93], v[32:33], v[180:181], -v[36:37]
	v_mul_f64 v[32:33], v[32:33], v[182:183]
	v_fma_f64 v[94:95], v[34:35], v[180:181], v[32:33]
	v_mul_f64 v[32:33], v[30:31], v[198:199]
	;; [unrolled: 4-line block ×4, first 2 shown]
	v_fma_f64 v[88:89], v[20:21], v[164:165], -v[24:25]
	v_mul_f64 v[20:21], v[20:21], v[166:167]
	v_fma_f64 v[90:91], v[22:23], v[164:165], v[20:21]
	v_add_f64 v[20:21], v[16:17], v[170:171]
	v_add_f64 v[28:29], v[20:21], v[186:187]
	;; [unrolled: 1-line block ×3, first 2 shown]
	v_fma_f64 v[16:17], v[20:21], -0.5, v[16:17]
	v_add_f64 v[20:21], v[176:177], -v[188:189]
	v_fma_f64 v[30:31], v[20:21], s[2:3], v[16:17]
	v_fma_f64 v[34:35], v[20:21], s[4:5], v[16:17]
	v_add_f64 v[16:17], v[18:19], v[176:177]
	v_add_f64 v[20:21], v[178:179], -v[190:191]
	v_add_f64 v[38:39], v[16:17], v[188:189]
	v_add_f64 v[16:17], v[176:177], v[188:189]
	v_fma_f64 v[16:17], v[16:17], -0.5, v[18:19]
	v_add_f64 v[18:19], v[170:171], -v[186:187]
	v_fma_f64 v[40:41], v[18:19], s[4:5], v[16:17]
	v_fma_f64 v[42:43], v[18:19], s[2:3], v[16:17]
	v_add_f64 v[16:17], v[168:169], v[178:179]
	v_add_f64 v[18:19], v[184:185], -v[204:205]
	v_add_f64 v[32:33], v[16:17], v[190:191]
	v_add_f64 v[16:17], v[178:179], v[190:191]
	;; [unrolled: 1-line block ×3, first 2 shown]
	v_fma_f64 v[16:17], v[16:17], -0.5, v[168:169]
	v_fma_f64 v[22:23], v[18:19], s[2:3], v[16:17]
	v_fma_f64 v[18:19], v[18:19], s[4:5], v[16:17]
	v_add_f64 v[16:17], v[144:145], v[184:185]
	v_add_f64 v[44:45], v[16:17], v[204:205]
	;; [unrolled: 1-line block ×4, first 2 shown]
	v_fma_f64 v[16:17], v[16:17], -0.5, v[144:145]
	v_add_f64 v[38:39], v[38:39], -v[44:45]
	v_fma_f64 v[36:37], v[20:21], s[4:5], v[16:17]
	v_fma_f64 v[46:47], v[20:21], s[2:3], v[16:17]
	v_mul_f64 v[16:17], v[36:37], s[2:3]
	v_fma_f64 v[48:49], v[22:23], 0.5, v[16:17]
	v_mul_f64 v[16:17], v[18:19], -0.5
	v_mul_f64 v[22:23], v[22:23], s[4:5]
	v_add_f64 v[20:21], v[30:31], v[48:49]
	v_fma_f64 v[50:51], v[46:47], s[2:3], v[16:17]
	v_fma_f64 v[52:53], v[36:37], 0.5, v[22:23]
	v_mul_f64 v[36:37], v[46:47], -0.5
	v_add_f64 v[16:17], v[34:35], v[50:51]
	v_add_f64 v[22:23], v[40:41], v[52:53]
	v_fma_f64 v[46:47], v[18:19], s[4:5], v[36:37]
	v_add_f64 v[36:37], v[28:29], -v[32:33]
	v_add_f64 v[28:29], v[34:35], -v[50:51]
	;; [unrolled: 1-line block ×3, first 2 shown]
	v_add_f64 v[40:41], v[12:13], v[132:133]
	v_add_f64 v[32:33], v[30:31], -v[48:49]
	v_add_f64 v[18:19], v[42:43], v[46:47]
	v_add_f64 v[30:31], v[42:43], -v[46:47]
	v_add_f64 v[48:49], v[40:41], v[140:141]
	v_add_f64 v[40:41], v[132:133], v[140:141]
	v_fma_f64 v[12:13], v[40:41], -0.5, v[12:13]
	v_add_f64 v[40:41], v[136:137], -v[142:143]
	v_fma_f64 v[50:51], v[40:41], s[2:3], v[12:13]
	v_fma_f64 v[54:55], v[40:41], s[4:5], v[12:13]
	v_add_f64 v[12:13], v[14:15], v[136:137]
	v_add_f64 v[40:41], v[126:127], -v[134:135]
	v_add_f64 v[58:59], v[12:13], v[142:143]
	v_add_f64 v[12:13], v[136:137], v[142:143]
	v_fma_f64 v[12:13], v[12:13], -0.5, v[14:15]
	v_add_f64 v[14:15], v[132:133], -v[140:141]
	v_fma_f64 v[62:63], v[14:15], s[4:5], v[12:13]
	v_fma_f64 v[132:133], v[14:15], s[2:3], v[12:13]
	v_add_f64 v[12:13], v[128:129], v[126:127]
	v_add_f64 v[14:15], v[130:131], -v[138:139]
	v_add_f64 v[52:53], v[12:13], v[134:135]
	v_add_f64 v[12:13], v[126:127], v[134:135]
	;; [unrolled: 1-line block ×3, first 2 shown]
	v_fma_f64 v[12:13], v[12:13], -0.5, v[128:129]
	v_fma_f64 v[42:43], v[14:15], s[2:3], v[12:13]
	v_fma_f64 v[14:15], v[14:15], s[4:5], v[12:13]
	v_add_f64 v[12:13], v[122:123], v[130:131]
	v_add_f64 v[128:129], v[12:13], v[138:139]
	;; [unrolled: 1-line block ×4, first 2 shown]
	v_fma_f64 v[12:13], v[12:13], -0.5, v[122:123]
	v_add_f64 v[58:59], v[58:59], -v[128:129]
	v_fma_f64 v[56:57], v[40:41], s[4:5], v[12:13]
	v_fma_f64 v[122:123], v[40:41], s[2:3], v[12:13]
	v_mul_f64 v[12:13], v[56:57], s[2:3]
	v_fma_f64 v[126:127], v[42:43], 0.5, v[12:13]
	v_mul_f64 v[12:13], v[14:15], -0.5
	v_mul_f64 v[42:43], v[42:43], s[4:5]
	v_add_f64 v[40:41], v[50:51], v[126:127]
	v_fma_f64 v[130:131], v[122:123], s[2:3], v[12:13]
	v_fma_f64 v[134:135], v[56:57], 0.5, v[42:43]
	v_mul_f64 v[56:57], v[122:123], -0.5
	v_add_f64 v[12:13], v[54:55], v[130:131]
	v_add_f64 v[42:43], v[62:63], v[134:135]
	v_fma_f64 v[122:123], v[14:15], s[4:5], v[56:57]
	v_add_f64 v[56:57], v[48:49], -v[52:53]
	v_add_f64 v[48:49], v[54:55], -v[130:131]
	;; [unrolled: 1-line block ×3, first 2 shown]
	v_add_f64 v[62:63], v[8:9], v[78:79]
	v_add_f64 v[52:53], v[50:51], -v[126:127]
	v_add_f64 v[14:15], v[132:133], v[122:123]
	v_add_f64 v[50:51], v[132:133], -v[122:123]
	v_add_f64 v[122:123], v[62:63], v[70:71]
	v_add_f64 v[62:63], v[78:79], v[70:71]
	v_fma_f64 v[8:9], v[62:63], -0.5, v[8:9]
	v_add_f64 v[62:63], v[74:75], -v[66:67]
	v_fma_f64 v[126:127], v[62:63], s[2:3], v[8:9]
	v_fma_f64 v[128:129], v[62:63], s[4:5], v[8:9]
	v_add_f64 v[8:9], v[10:11], v[74:75]
	v_add_f64 v[130:131], v[8:9], v[66:67]
	;; [unrolled: 1-line block ×3, first 2 shown]
	v_fma_f64 v[8:9], v[8:9], -0.5, v[10:11]
	v_add_f64 v[10:11], v[78:79], -v[70:71]
	v_fma_f64 v[70:71], v[10:11], s[4:5], v[8:9]
	v_fma_f64 v[132:133], v[10:11], s[2:3], v[8:9]
	v_add_f64 v[8:9], v[96:97], v[72:73]
	v_add_f64 v[10:11], v[68:69], -v[60:61]
	v_add_f64 v[74:75], v[8:9], v[64:65]
	v_add_f64 v[8:9], v[72:73], v[64:65]
	v_fma_f64 v[8:9], v[8:9], -0.5, v[96:97]
	v_fma_f64 v[62:63], v[10:11], s[2:3], v[8:9]
	v_fma_f64 v[10:11], v[10:11], s[4:5], v[8:9]
	v_add_f64 v[8:9], v[76:77], v[68:69]
	v_add_f64 v[78:79], v[8:9], v[60:61]
	;; [unrolled: 1-line block ×3, first 2 shown]
	v_add_f64 v[60:61], v[72:73], -v[64:65]
	v_add_f64 v[64:65], v[122:123], v[74:75]
	v_add_f64 v[66:67], v[130:131], v[78:79]
	v_fma_f64 v[8:9], v[8:9], -0.5, v[76:77]
	v_add_f64 v[76:77], v[122:123], -v[74:75]
	v_add_f64 v[122:123], v[110:111], v[118:119]
	v_add_f64 v[78:79], v[130:131], -v[78:79]
	v_fma_f64 v[68:69], v[60:61], s[4:5], v[8:9]
	v_fma_f64 v[72:73], v[60:61], s[2:3], v[8:9]
	v_mul_f64 v[8:9], v[68:69], s[2:3]
	v_fma_f64 v[96:97], v[62:63], 0.5, v[8:9]
	v_mul_f64 v[8:9], v[10:11], -0.5
	v_mul_f64 v[62:63], v[62:63], s[4:5]
	v_add_f64 v[60:61], v[126:127], v[96:97]
	v_fma_f64 v[134:135], v[72:73], s[2:3], v[8:9]
	v_fma_f64 v[136:137], v[68:69], 0.5, v[62:63]
	v_mul_f64 v[68:69], v[72:73], -0.5
	v_add_f64 v[72:73], v[126:127], -v[96:97]
	v_add_f64 v[96:97], v[4:5], v[110:111]
	v_fma_f64 v[4:5], v[122:123], -0.5, v[4:5]
	v_add_f64 v[122:123], v[114:115], -v[124:125]
	v_add_f64 v[8:9], v[128:129], v[134:135]
	v_add_f64 v[62:63], v[70:71], v[136:137]
	v_fma_f64 v[138:139], v[10:11], s[4:5], v[68:69]
	v_add_f64 v[68:69], v[128:129], -v[134:135]
	v_add_f64 v[96:97], v[96:97], v[118:119]
	v_add_f64 v[74:75], v[70:71], -v[136:137]
	v_fma_f64 v[126:127], v[122:123], s[2:3], v[4:5]
	v_fma_f64 v[122:123], v[122:123], s[4:5], v[4:5]
	v_add_f64 v[4:5], v[6:7], v[114:115]
	v_add_f64 v[10:11], v[132:133], v[138:139]
	v_add_f64 v[70:71], v[132:133], -v[138:139]
	v_add_f64 v[128:129], v[4:5], v[124:125]
	v_add_f64 v[4:5], v[114:115], v[124:125]
	v_fma_f64 v[4:5], v[4:5], -0.5, v[6:7]
	v_add_f64 v[6:7], v[110:111], -v[118:119]
	v_fma_f64 v[118:119], v[6:7], s[4:5], v[4:5]
	v_fma_f64 v[130:131], v[6:7], s[2:3], v[4:5]
	v_add_f64 v[4:5], v[106:107], v[104:105]
	v_add_f64 v[6:7], v[108:109], -v[116:117]
	v_add_f64 v[110:111], v[4:5], v[112:113]
	v_add_f64 v[4:5], v[104:105], v[112:113]
	v_fma_f64 v[4:5], v[4:5], -0.5, v[106:107]
	v_fma_f64 v[114:115], v[6:7], s[2:3], v[4:5]
	v_fma_f64 v[124:125], v[6:7], s[4:5], v[4:5]
	v_add_f64 v[4:5], v[102:103], v[108:109]
	v_add_f64 v[6:7], v[104:105], -v[112:113]
	v_add_f64 v[132:133], v[4:5], v[116:117]
	v_add_f64 v[4:5], v[108:109], v[116:117]
	v_fma_f64 v[4:5], v[4:5], -0.5, v[102:103]
	v_fma_f64 v[104:105], v[6:7], s[4:5], v[4:5]
	v_fma_f64 v[108:109], v[6:7], s[2:3], v[4:5]
	v_add_f64 v[4:5], v[96:97], v[110:111]
	v_add_f64 v[110:111], v[96:97], -v[110:111]
	v_add_f64 v[96:97], v[0:1], v[92:93]
	v_mul_f64 v[6:7], v[104:105], s[2:3]
	v_add_f64 v[96:97], v[96:97], v[98:99]
	v_fma_f64 v[112:113], v[114:115], 0.5, v[6:7]
	v_mul_f64 v[6:7], v[124:125], -0.5
	v_mul_f64 v[114:115], v[114:115], s[4:5]
	v_add_f64 v[102:103], v[126:127], v[112:113]
	v_fma_f64 v[116:117], v[108:109], s[2:3], v[6:7]
	v_fma_f64 v[134:135], v[104:105], 0.5, v[114:115]
	v_mul_f64 v[108:109], v[108:109], -0.5
	v_add_f64 v[6:7], v[128:129], v[132:133]
	v_add_f64 v[114:115], v[126:127], -v[112:113]
	v_add_f64 v[112:113], v[128:129], -v[132:133]
	v_add_f64 v[106:107], v[122:123], v[116:117]
	v_add_f64 v[104:105], v[118:119], v[134:135]
	v_fma_f64 v[136:137], v[124:125], s[4:5], v[108:109]
	v_add_f64 v[124:125], v[122:123], -v[116:117]
	v_add_f64 v[116:117], v[118:119], -v[134:135]
	v_add_f64 v[118:119], v[92:93], v[98:99]
	v_add_f64 v[108:109], v[130:131], v[136:137]
	v_add_f64 v[126:127], v[130:131], -v[136:137]
	v_fma_f64 v[0:1], v[118:119], -0.5, v[0:1]
	v_add_f64 v[118:119], v[94:95], -v[100:101]
	v_fma_f64 v[122:123], v[118:119], s[2:3], v[0:1]
	v_fma_f64 v[118:119], v[118:119], s[4:5], v[0:1]
	v_add_f64 v[0:1], v[2:3], v[94:95]
	v_add_f64 v[128:129], v[0:1], v[100:101]
	v_add_f64 v[0:1], v[94:95], v[100:101]
	v_fma_f64 v[0:1], v[0:1], -0.5, v[2:3]
	v_add_f64 v[2:3], v[92:93], -v[98:99]
	v_fma_f64 v[94:95], v[2:3], s[4:5], v[0:1]
	v_fma_f64 v[98:99], v[2:3], s[2:3], v[0:1]
	v_add_f64 v[0:1], v[84:85], v[82:83]
	v_add_f64 v[2:3], v[86:87], -v[90:91]
	v_add_f64 v[92:93], v[0:1], v[88:89]
	v_add_f64 v[0:1], v[82:83], v[88:89]
	v_fma_f64 v[0:1], v[0:1], -0.5, v[84:85]
	v_fma_f64 v[100:101], v[2:3], s[2:3], v[0:1]
	v_fma_f64 v[130:131], v[2:3], s[4:5], v[0:1]
	v_add_f64 v[0:1], v[80:81], v[86:87]
	v_add_f64 v[2:3], v[82:83], -v[88:89]
	v_mul_f64 v[88:89], v[100:101], s[4:5]
	v_add_f64 v[132:133], v[0:1], v[90:91]
	v_add_f64 v[0:1], v[86:87], v[90:91]
	v_fma_f64 v[0:1], v[0:1], -0.5, v[80:81]
	v_fma_f64 v[82:83], v[2:3], s[4:5], v[0:1]
	v_fma_f64 v[86:87], v[2:3], s[2:3], v[0:1]
	v_add_f64 v[0:1], v[96:97], v[92:93]
	v_mul_f64 v[2:3], v[82:83], s[2:3]
	v_fma_f64 v[90:91], v[100:101], 0.5, v[2:3]
	v_mul_f64 v[2:3], v[130:131], -0.5
	v_fma_f64 v[100:101], v[82:83], 0.5, v[88:89]
	v_add_f64 v[88:89], v[96:97], -v[92:93]
	v_add_f64 v[80:81], v[122:123], v[90:91]
	v_fma_f64 v[134:135], v[86:87], s[2:3], v[2:3]
	v_mul_f64 v[86:87], v[86:87], -0.5
	v_add_f64 v[82:83], v[94:95], v[100:101]
	v_add_f64 v[94:95], v[94:95], -v[100:101]
	v_mov_b32_e32 v100, 0x21c
	v_cndmask_b32_e32 v100, 0, v100, vcc
	v_add_f64 v[92:93], v[122:123], -v[90:91]
	v_add_lshl_u32 v123, v146, v100, 4
	v_add_f64 v[2:3], v[128:129], v[132:133]
	v_fma_f64 v[130:131], v[130:131], s[4:5], v[86:87]
	ds_write_b128 v123, v[24:27]
	ds_write_b128 v123, v[20:23] offset:1440
	ds_write_b128 v123, v[16:19] offset:2880
	;; [unrolled: 1-line block ×5, first 2 shown]
	v_mul_u32_u24_e32 v16, 0x21c, v147
	v_add_lshl_u32 v161, v16, v121, 4
	v_add_f64 v[84:85], v[118:119], v[134:135]
	ds_write_b128 v161, v[44:47]
	ds_write_b128 v161, v[40:43] offset:1440
	ds_write_b128 v161, v[12:15] offset:2880
	;; [unrolled: 1-line block ×5, first 2 shown]
	v_mad_legacy_u16 v12, v148, s31, v149
	v_add_f64 v[90:91], v[128:129], -v[132:133]
	v_add_f64 v[86:87], v[98:99], v[130:131]
	v_lshlrev_b32_e32 v12, 4, v12
	buffer_store_dword v12, off, s[36:39], 0 offset:1744 ; 4-byte Folded Spill
	ds_write_b128 v12, v[64:67]
	ds_write_b128 v12, v[60:63] offset:1440
	ds_write_b128 v12, v[8:11] offset:2880
	;; [unrolled: 1-line block ×5, first 2 shown]
	v_mad_legacy_u16 v8, v150, s31, v151
	v_add_f64 v[96:97], v[118:119], -v[134:135]
	v_add_f64 v[98:99], v[98:99], -v[130:131]
	v_lshlrev_b32_e32 v8, 4, v8
	buffer_store_dword v8, off, s[36:39], 0 offset:1596 ; 4-byte Folded Spill
	ds_write_b128 v8, v[4:7]
	ds_write_b128 v8, v[102:105] offset:1440
	ds_write_b128 v8, v[106:109] offset:2880
	;; [unrolled: 1-line block ×5, first 2 shown]
	v_mad_legacy_u16 v4, v154, s31, v155
	v_lshlrev_b32_e32 v4, 4, v4
	buffer_store_dword v4, off, s[36:39], 0 offset:1304 ; 4-byte Folded Spill
	ds_write_b128 v4, v[0:3]
	ds_write_b128 v4, v[80:83] offset:1440
	ds_write_b128 v4, v[84:87] offset:2880
	ds_write_b128 v4, v[88:91] offset:4320
	ds_write_b128 v4, v[92:95] offset:5760
	ds_write_b128 v4, v[96:99] offset:7200
	v_mad_u64_u32 v[94:95], s[10:11], v156, s11, v[159:160]
	s_movk_i32 s10, 0x2190
	s_waitcnt lgkmcnt(0)
	v_add_co_u32_e32 v92, vcc, s10, v94
	v_addc_co_u32_e32 v93, vcc, 0, v95, vcc
	v_add_co_u32_e32 v104, vcc, s30, v94
	v_addc_co_u32_e32 v105, vcc, 0, v95, vcc
	s_waitcnt vmcnt(0)
	s_barrier
	ds_read_b128 v[16:19], v120
	ds_read_b128 v[4:7], v120 offset:8640
	ds_read_b128 v[8:11], v120 offset:17280
	;; [unrolled: 1-line block ×29, first 2 shown]
	global_load_dwordx4 v[148:151], v[104:105], off offset:400
	global_load_dwordx4 v[128:131], v[92:93], off offset:48
	;; [unrolled: 1-line block ×4, first 2 shown]
	s_waitcnt vmcnt(3)
	buffer_store_dword v148, off, s[36:39], 0 offset:1436 ; 4-byte Folded Spill
	s_nop 0
	buffer_store_dword v149, off, s[36:39], 0 offset:1440 ; 4-byte Folded Spill
	buffer_store_dword v150, off, s[36:39], 0 offset:1444 ; 4-byte Folded Spill
	;; [unrolled: 1-line block ×3, first 2 shown]
	s_waitcnt vmcnt(4)
	buffer_store_dword v144, off, s[36:39], 0 offset:1452 ; 4-byte Folded Spill
	s_nop 0
	buffer_store_dword v145, off, s[36:39], 0 offset:1456 ; 4-byte Folded Spill
	buffer_store_dword v146, off, s[36:39], 0 offset:1460 ; 4-byte Folded Spill
	;; [unrolled: 1-line block ×3, first 2 shown]
	s_movk_i32 s10, 0x4350
	v_mov_b32_e32 v160, v156
	s_waitcnt lgkmcnt(14)
	v_mul_f64 v[92:93], v[6:7], v[150:151]
	v_fma_f64 v[126:127], v[4:5], v[148:149], -v[92:93]
	v_mul_f64 v[4:5], v[4:5], v[150:151]
	v_fma_f64 v[124:125], v[6:7], v[148:149], v[4:5]
	v_mul_f64 v[4:5], v[10:11], v[146:147]
	v_fma_f64 v[6:7], v[8:9], v[144:145], -v[4:5]
	v_mul_f64 v[4:5], v[8:9], v[146:147]
	v_fma_f64 v[154:155], v[10:11], v[144:145], v[4:5]
	v_mov_b32_e32 v8, v136
	v_mov_b32_e32 v9, v137
	v_mov_b32_e32 v10, v138
	v_mov_b32_e32 v11, v139
	buffer_store_dword v8, off, s[36:39], 0 offset:1420 ; 4-byte Folded Spill
	s_nop 0
	buffer_store_dword v9, off, s[36:39], 0 offset:1424 ; 4-byte Folded Spill
	buffer_store_dword v10, off, s[36:39], 0 offset:1428 ; 4-byte Folded Spill
	;; [unrolled: 1-line block ×4, first 2 shown]
	s_nop 0
	buffer_store_dword v129, off, s[36:39], 0 offset:1408 ; 4-byte Folded Spill
	buffer_store_dword v130, off, s[36:39], 0 offset:1412 ; 4-byte Folded Spill
	;; [unrolled: 1-line block ×3, first 2 shown]
	v_mul_f64 v[4:5], v[86:87], v[10:11]
	v_fma_f64 v[136:137], v[84:85], v[8:9], -v[4:5]
	v_mul_f64 v[4:5], v[84:85], v[10:11]
	v_fma_f64 v[138:139], v[86:87], v[8:9], v[4:5]
	global_load_dwordx4 v[84:87], v[104:105], off offset:464
	s_waitcnt vmcnt(0)
	buffer_store_dword v84, off, s[36:39], 0 offset:1388 ; 4-byte Folded Spill
	s_nop 0
	buffer_store_dword v85, off, s[36:39], 0 offset:1392 ; 4-byte Folded Spill
	buffer_store_dword v86, off, s[36:39], 0 offset:1396 ; 4-byte Folded Spill
	buffer_store_dword v87, off, s[36:39], 0 offset:1400 ; 4-byte Folded Spill
	v_mul_f64 v[8:9], v[88:89], v[130:131]
	v_mul_f64 v[4:5], v[90:91], v[130:131]
	v_fma_f64 v[148:149], v[90:91], v[128:129], v[8:9]
	v_fma_f64 v[4:5], v[88:89], v[128:129], -v[4:5]
	v_mul_f64 v[10:11], v[100:101], v[86:87]
	v_mul_f64 v[8:9], v[102:103], v[86:87]
	v_fma_f64 v[146:147], v[102:103], v[84:85], v[10:11]
	v_add_co_u32_e32 v10, vcc, s10, v94
	v_addc_co_u32_e32 v11, vcc, 0, v95, vcc
	v_fma_f64 v[8:9], v[100:101], v[84:85], -v[8:9]
	v_add_co_u32_e32 v100, vcc, s27, v94
	v_addc_co_u32_e32 v101, vcc, 0, v95, vcc
	global_load_dwordx4 v[84:87], v[100:101], off offset:848
	global_load_dwordx4 v[168:171], v[10:11], off offset:48
	;; [unrolled: 1-line block ×3, first 2 shown]
	s_waitcnt vmcnt(0)
	buffer_store_dword v176, off, s[36:39], 0 offset:1484 ; 4-byte Folded Spill
	s_nop 0
	buffer_store_dword v177, off, s[36:39], 0 offset:1488 ; 4-byte Folded Spill
	buffer_store_dword v178, off, s[36:39], 0 offset:1492 ; 4-byte Folded Spill
	;; [unrolled: 1-line block ×3, first 2 shown]
	global_load_dwordx4 v[90:93], v[10:11], off offset:16
	s_nop 0
	buffer_store_dword v84, off, s[36:39], 0 offset:1516 ; 4-byte Folded Spill
	s_nop 0
	buffer_store_dword v85, off, s[36:39], 0 offset:1520 ; 4-byte Folded Spill
	buffer_store_dword v86, off, s[36:39], 0 offset:1524 ; 4-byte Folded Spill
	;; [unrolled: 1-line block ×3, first 2 shown]
	s_waitcnt vmcnt(4)
	buffer_store_dword v90, off, s[36:39], 0 offset:1500 ; 4-byte Folded Spill
	s_nop 0
	buffer_store_dword v91, off, s[36:39], 0 offset:1504 ; 4-byte Folded Spill
	buffer_store_dword v92, off, s[36:39], 0 offset:1508 ; 4-byte Folded Spill
	;; [unrolled: 1-line block ×4, first 2 shown]
	s_nop 0
	buffer_store_dword v169, off, s[36:39], 0 offset:1472 ; 4-byte Folded Spill
	buffer_store_dword v170, off, s[36:39], 0 offset:1476 ; 4-byte Folded Spill
	;; [unrolled: 1-line block ×3, first 2 shown]
	global_load_dwordx4 v[100:103], v[100:101], off offset:912
	s_waitcnt vmcnt(0)
	buffer_store_dword v100, off, s[36:39], 0 offset:1616 ; 4-byte Folded Spill
	s_nop 0
	buffer_store_dword v101, off, s[36:39], 0 offset:1620 ; 4-byte Folded Spill
	buffer_store_dword v102, off, s[36:39], 0 offset:1624 ; 4-byte Folded Spill
	;; [unrolled: 1-line block ×3, first 2 shown]
	v_mul_f64 v[10:11], v[108:109], v[86:87]
	s_movk_i32 s10, 0x6510
	v_fma_f64 v[104:105], v[106:107], v[84:85], -v[10:11]
	v_mul_f64 v[10:11], v[106:107], v[86:87]
	v_fma_f64 v[128:129], v[108:109], v[84:85], v[10:11]
	v_mul_f64 v[10:11], v[112:113], v[92:93]
	v_fma_f64 v[88:89], v[110:111], v[90:91], -v[10:11]
	v_mul_f64 v[10:11], v[110:111], v[92:93]
	v_fma_f64 v[86:87], v[112:113], v[90:91], v[10:11]
	v_mul_f64 v[10:11], v[116:117], v[178:179]
	v_fma_f64 v[92:93], v[114:115], v[176:177], -v[10:11]
	v_mul_f64 v[10:11], v[114:115], v[178:179]
	v_fma_f64 v[90:91], v[116:117], v[176:177], v[10:11]
	v_mul_f64 v[10:11], v[142:143], v[170:171]
	v_fma_f64 v[130:131], v[140:141], v[168:169], -v[10:11]
	v_mul_f64 v[10:11], v[140:141], v[170:171]
	v_fma_f64 v[84:85], v[142:143], v[168:169], v[10:11]
	v_mul_f64 v[10:11], v[82:83], v[102:103]
	v_fma_f64 v[142:143], v[80:81], v[100:101], -v[10:11]
	v_mul_f64 v[10:11], v[80:81], v[102:103]
	v_add_co_u32_e32 v80, vcc, s10, v94
	v_addc_co_u32_e32 v81, vcc, 0, v95, vcc
	s_mov_b32 s10, 0x86d0
	v_fma_f64 v[10:11], v[82:83], v[100:101], v[10:11]
	v_add_co_u32_e32 v82, vcc, s29, v94
	v_addc_co_u32_e32 v83, vcc, 0, v95, vcc
	global_load_dwordx4 v[114:117], v[82:83], off offset:1296
	global_load_dwordx4 v[100:103], v[80:81], off offset:48
	;; [unrolled: 1-line block ×4, first 2 shown]
	s_waitcnt vmcnt(3)
	buffer_store_dword v114, off, s[36:39], 0 offset:1712 ; 4-byte Folded Spill
	s_nop 0
	buffer_store_dword v115, off, s[36:39], 0 offset:1716 ; 4-byte Folded Spill
	buffer_store_dword v116, off, s[36:39], 0 offset:1720 ; 4-byte Folded Spill
	;; [unrolled: 1-line block ×3, first 2 shown]
	s_waitcnt vmcnt(4)
	buffer_store_dword v110, off, s[36:39], 0 offset:1696 ; 4-byte Folded Spill
	s_nop 0
	buffer_store_dword v111, off, s[36:39], 0 offset:1700 ; 4-byte Folded Spill
	buffer_store_dword v112, off, s[36:39], 0 offset:1704 ; 4-byte Folded Spill
	buffer_store_dword v113, off, s[36:39], 0 offset:1708 ; 4-byte Folded Spill
	buffer_store_dword v106, off, s[36:39], 0 offset:1664 ; 4-byte Folded Spill
	s_nop 0
	buffer_store_dword v107, off, s[36:39], 0 offset:1668 ; 4-byte Folded Spill
	buffer_store_dword v108, off, s[36:39], 0 offset:1672 ; 4-byte Folded Spill
	buffer_store_dword v109, off, s[36:39], 0 offset:1676 ; 4-byte Folded Spill
	;; [unrolled: 5-line block ×3, first 2 shown]
	v_mul_f64 v[80:81], v[78:79], v[116:117]
	v_fma_f64 v[80:81], v[76:77], v[114:115], -v[80:81]
	v_mul_f64 v[76:77], v[76:77], v[116:117]
	v_fma_f64 v[76:77], v[78:79], v[114:115], v[76:77]
	v_mul_f64 v[78:79], v[74:75], v[112:113]
	v_fma_f64 v[78:79], v[72:73], v[110:111], -v[78:79]
	v_mul_f64 v[72:73], v[72:73], v[112:113]
	v_fma_f64 v[74:75], v[74:75], v[110:111], v[72:73]
	;; [unrolled: 4-line block ×3, first 2 shown]
	s_waitcnt lgkmcnt(13)
	v_mul_f64 v[70:71], v[66:67], v[102:103]
	v_fma_f64 v[70:71], v[64:65], v[100:101], -v[70:71]
	v_mul_f64 v[64:65], v[64:65], v[102:103]
	v_fma_f64 v[66:67], v[66:67], v[100:101], v[64:65]
	global_load_dwordx4 v[100:103], v[82:83], off offset:1360
	s_waitcnt vmcnt(0)
	buffer_store_dword v100, off, s[36:39], 0 offset:1632 ; 4-byte Folded Spill
	s_nop 0
	buffer_store_dword v101, off, s[36:39], 0 offset:1636 ; 4-byte Folded Spill
	buffer_store_dword v102, off, s[36:39], 0 offset:1640 ; 4-byte Folded Spill
	;; [unrolled: 1-line block ×3, first 2 shown]
	s_waitcnt lgkmcnt(12)
	v_mul_f64 v[64:65], v[62:63], v[102:103]
	v_fma_f64 v[64:65], v[60:61], v[100:101], -v[64:65]
	v_mul_f64 v[60:61], v[60:61], v[102:103]
	v_fma_f64 v[60:61], v[62:63], v[100:101], v[60:61]
	v_add_co_u32_e32 v62, vcc, s10, v94
	v_addc_co_u32_e32 v63, vcc, 0, v95, vcc
	v_add_co_u32_e32 v82, vcc, s26, v94
	v_addc_co_u32_e32 v83, vcc, 0, v95, vcc
	global_load_dwordx4 v[220:223], v[82:83], off offset:1744
	global_load_dwordx4 v[112:115], v[62:63], off offset:48
	;; [unrolled: 1-line block ×4, first 2 shown]
	s_mov_b32 s10, 0xa890
	s_waitcnt vmcnt(3) lgkmcnt(10)
	v_mul_f64 v[62:63], v[58:59], v[222:223]
	v_fma_f64 v[140:141], v[56:57], v[220:221], -v[62:63]
	v_mul_f64 v[56:57], v[56:57], v[222:223]
	v_fma_f64 v[144:145], v[58:59], v[220:221], v[56:57]
	s_waitcnt vmcnt(0) lgkmcnt(9)
	v_mul_f64 v[56:57], v[54:55], v[242:243]
	v_fma_f64 v[108:109], v[52:53], v[240:241], -v[56:57]
	v_mul_f64 v[52:53], v[52:53], v[242:243]
	v_fma_f64 v[110:111], v[54:55], v[240:241], v[52:53]
	v_mov_b32_e32 v54, v100
	v_mov_b32_e32 v55, v101
	v_mov_b32_e32 v56, v102
	v_mov_b32_e32 v57, v103
	buffer_store_dword v54, off, s[36:39], 0 offset:1748 ; 4-byte Folded Spill
	s_nop 0
	buffer_store_dword v55, off, s[36:39], 0 offset:1752 ; 4-byte Folded Spill
	buffer_store_dword v56, off, s[36:39], 0 offset:1756 ; 4-byte Folded Spill
	;; [unrolled: 1-line block ×3, first 2 shown]
	s_waitcnt lgkmcnt(8)
	v_mul_f64 v[52:53], v[50:51], v[56:57]
	v_fma_f64 v[102:103], v[48:49], v[54:55], -v[52:53]
	v_mul_f64 v[48:49], v[48:49], v[56:57]
	v_fma_f64 v[106:107], v[50:51], v[54:55], v[48:49]
	v_mov_b32_e32 v50, v112
	v_mov_b32_e32 v51, v113
	;; [unrolled: 1-line block ×4, first 2 shown]
	buffer_store_dword v50, off, s[36:39], 0 offset:1728 ; 4-byte Folded Spill
	s_nop 0
	buffer_store_dword v51, off, s[36:39], 0 offset:1732 ; 4-byte Folded Spill
	buffer_store_dword v52, off, s[36:39], 0 offset:1736 ; 4-byte Folded Spill
	;; [unrolled: 1-line block ×3, first 2 shown]
	global_load_dwordx4 v[212:215], v[82:83], off offset:1808
	s_waitcnt lgkmcnt(7)
	v_mul_f64 v[48:49], v[46:47], v[52:53]
	v_fma_f64 v[112:113], v[44:45], v[50:51], -v[48:49]
	v_mul_f64 v[44:45], v[44:45], v[52:53]
	v_fma_f64 v[114:115], v[46:47], v[50:51], v[44:45]
	s_waitcnt vmcnt(0) lgkmcnt(6)
	v_mul_f64 v[44:45], v[42:43], v[214:215]
	v_fma_f64 v[116:117], v[40:41], v[212:213], -v[44:45]
	v_mul_f64 v[40:41], v[40:41], v[214:215]
	v_fma_f64 v[118:119], v[42:43], v[212:213], v[40:41]
	v_add_co_u32_e32 v40, vcc, s10, v94
	v_addc_co_u32_e32 v41, vcc, 0, v95, vcc
	v_add_co_u32_e32 v42, vcc, s28, v94
	v_addc_co_u32_e32 v43, vcc, 0, v95, vcc
	global_load_dwordx4 v[176:179], v[42:43], off offset:2192
	global_load_dwordx4 v[204:207], v[40:41], off offset:48
	;; [unrolled: 1-line block ×5, first 2 shown]
	s_mov_b32 s10, 0xca80
	s_waitcnt vmcnt(4) lgkmcnt(4)
	v_mul_f64 v[40:41], v[38:39], v[178:179]
	v_fma_f64 v[150:151], v[36:37], v[176:177], -v[40:41]
	v_mul_f64 v[36:37], v[36:37], v[178:179]
	v_fma_f64 v[38:39], v[38:39], v[176:177], v[36:37]
	s_waitcnt vmcnt(1) lgkmcnt(3)
	v_mul_f64 v[36:37], v[34:35], v[186:187]
	v_fma_f64 v[36:37], v[32:33], v[184:185], -v[36:37]
	v_mul_f64 v[32:33], v[32:33], v[186:187]
	v_fma_f64 v[94:95], v[34:35], v[184:185], v[32:33]
	s_waitcnt lgkmcnt(2)
	v_mul_f64 v[32:33], v[30:31], v[190:191]
	v_fma_f64 v[82:83], v[28:29], v[188:189], -v[32:33]
	v_mul_f64 v[28:29], v[28:29], v[190:191]
	v_fma_f64 v[28:29], v[30:31], v[188:189], v[28:29]
	s_waitcnt lgkmcnt(1)
	v_mul_f64 v[30:31], v[26:27], v[206:207]
	v_fma_f64 v[121:122], v[24:25], v[204:205], -v[30:31]
	v_mul_f64 v[24:25], v[24:25], v[206:207]
	v_fma_f64 v[100:101], v[26:27], v[204:205], v[24:25]
	s_waitcnt vmcnt(0) lgkmcnt(0)
	v_mul_f64 v[24:25], v[22:23], v[170:171]
	v_fma_f64 v[30:31], v[20:21], v[168:169], -v[24:25]
	v_mul_f64 v[20:21], v[20:21], v[170:171]
	v_add_f64 v[24:25], v[6:7], v[4:5]
	v_fma_f64 v[20:21], v[22:23], v[168:169], v[20:21]
	v_add_f64 v[22:23], v[16:17], v[6:7]
	v_fma_f64 v[16:17], v[24:25], -0.5, v[16:17]
	v_add_f64 v[24:25], v[154:155], -v[148:149]
	v_add_f64 v[22:23], v[22:23], v[4:5]
	v_add_f64 v[4:5], v[6:7], -v[4:5]
	v_fma_f64 v[32:33], v[24:25], s[2:3], v[16:17]
	v_fma_f64 v[16:17], v[24:25], s[4:5], v[16:17]
	v_add_f64 v[24:25], v[18:19], v[154:155]
	v_add_f64 v[6:7], v[136:137], v[8:9]
	;; [unrolled: 1-line block ×4, first 2 shown]
	v_fma_f64 v[6:7], v[6:7], -0.5, v[126:127]
	v_fma_f64 v[18:19], v[24:25], -0.5, v[18:19]
	v_add_f64 v[24:25], v[138:139], -v[146:147]
	v_fma_f64 v[40:41], v[4:5], s[4:5], v[18:19]
	v_fma_f64 v[42:43], v[24:25], s[2:3], v[6:7]
	;; [unrolled: 1-line block ×3, first 2 shown]
	v_add_f64 v[24:25], v[124:125], v[138:139]
	v_fma_f64 v[18:19], v[4:5], s[2:3], v[18:19]
	v_add_f64 v[4:5], v[126:127], v[136:137]
	v_add_f64 v[44:45], v[24:25], v[146:147]
	;; [unrolled: 1-line block ×4, first 2 shown]
	v_add_f64 v[8:9], v[136:137], -v[8:9]
	v_fma_f64 v[24:25], v[24:25], -0.5, v[124:125]
	v_fma_f64 v[46:47], v[8:9], s[4:5], v[24:25]
	v_fma_f64 v[8:9], v[8:9], s[2:3], v[24:25]
	v_add_f64 v[24:25], v[22:23], v[4:5]
	v_add_f64 v[4:5], v[22:23], -v[4:5]
	v_add_f64 v[22:23], v[88:89], v[130:131]
	v_mul_f64 v[26:27], v[46:47], s[2:3]
	v_fma_f64 v[48:49], v[42:43], 0.5, v[26:27]
	v_mul_f64 v[26:27], v[6:7], -0.5
	v_mul_f64 v[42:43], v[42:43], s[4:5]
	v_add_f64 v[124:125], v[32:33], v[48:49]
	v_fma_f64 v[50:51], v[8:9], s[2:3], v[26:27]
	v_mul_f64 v[8:9], v[8:9], -0.5
	v_add_f64 v[32:33], v[32:33], -v[48:49]
	v_fma_f64 v[42:43], v[46:47], 0.5, v[42:43]
	v_add_f64 v[26:27], v[34:35], v[44:45]
	v_add_f64 v[136:137], v[16:17], v[50:51]
	v_fma_f64 v[8:9], v[6:7], s[4:5], v[8:9]
	v_add_f64 v[16:17], v[16:17], -v[50:51]
	v_add_f64 v[126:127], v[40:41], v[42:43]
	v_add_f64 v[6:7], v[34:35], -v[44:45]
	v_add_f64 v[34:35], v[40:41], -v[42:43]
	v_add_f64 v[138:139], v[18:19], v[8:9]
	v_add_f64 v[18:19], v[18:19], -v[8:9]
	v_add_f64 v[8:9], v[12:13], v[88:89]
	v_fma_f64 v[12:13], v[22:23], -0.5, v[12:13]
	v_add_f64 v[22:23], v[86:87], -v[84:85]
	v_add_f64 v[8:9], v[8:9], v[130:131]
	v_fma_f64 v[48:49], v[22:23], s[2:3], v[12:13]
	v_fma_f64 v[22:23], v[22:23], s[4:5], v[12:13]
	v_add_f64 v[12:13], v[14:15], v[86:87]
	v_add_f64 v[50:51], v[12:13], v[84:85]
	v_add_f64 v[12:13], v[86:87], v[84:85]
	v_fma_f64 v[12:13], v[12:13], -0.5, v[14:15]
	v_add_f64 v[14:15], v[88:89], -v[130:131]
	v_fma_f64 v[54:55], v[14:15], s[4:5], v[12:13]
	v_fma_f64 v[62:63], v[14:15], s[2:3], v[12:13]
	v_add_f64 v[12:13], v[104:105], v[92:93]
	v_add_f64 v[14:15], v[90:91], -v[10:11]
	v_add_f64 v[52:53], v[12:13], v[142:143]
	v_add_f64 v[12:13], v[92:93], v[142:143]
	;; [unrolled: 1-line block ×3, first 2 shown]
	v_fma_f64 v[12:13], v[12:13], -0.5, v[104:105]
	v_fma_f64 v[42:43], v[14:15], s[2:3], v[12:13]
	v_fma_f64 v[14:15], v[14:15], s[4:5], v[12:13]
	v_add_f64 v[12:13], v[128:129], v[90:91]
	v_add_f64 v[58:59], v[12:13], v[10:11]
	;; [unrolled: 1-line block ×3, first 2 shown]
	v_add_f64 v[12:13], v[92:93], -v[142:143]
	v_add_f64 v[46:47], v[50:51], v[58:59]
	v_fma_f64 v[10:11], v[10:11], -0.5, v[128:129]
	v_add_f64 v[58:59], v[50:51], -v[58:59]
	v_fma_f64 v[56:57], v[12:13], s[4:5], v[10:11]
	v_fma_f64 v[10:11], v[12:13], s[2:3], v[10:11]
	v_mul_f64 v[12:13], v[56:57], s[2:3]
	v_fma_f64 v[84:85], v[42:43], 0.5, v[12:13]
	v_mul_f64 v[12:13], v[14:15], -0.5
	v_mul_f64 v[42:43], v[42:43], s[4:5]
	v_add_f64 v[40:41], v[48:49], v[84:85]
	v_fma_f64 v[86:87], v[10:11], s[2:3], v[12:13]
	v_mul_f64 v[10:11], v[10:11], -0.5
	v_fma_f64 v[88:89], v[56:57], 0.5, v[42:43]
	v_add_f64 v[56:57], v[8:9], -v[52:53]
	v_add_f64 v[8:9], v[0:1], v[78:79]
	v_add_f64 v[52:53], v[48:49], -v[84:85]
	v_add_f64 v[12:13], v[22:23], v[86:87]
	v_fma_f64 v[10:11], v[14:15], s[4:5], v[10:11]
	v_add_f64 v[48:49], v[22:23], -v[86:87]
	v_add_f64 v[42:43], v[54:55], v[88:89]
	v_add_f64 v[8:9], v[8:9], v[70:71]
	v_add_f64 v[54:55], v[54:55], -v[88:89]
	v_add_f64 v[14:15], v[62:63], v[10:11]
	v_add_f64 v[50:51], v[62:63], -v[10:11]
	v_add_f64 v[10:11], v[78:79], v[70:71]
	v_fma_f64 v[0:1], v[10:11], -0.5, v[0:1]
	v_add_f64 v[10:11], v[74:75], -v[66:67]
	v_fma_f64 v[22:23], v[10:11], s[2:3], v[0:1]
	v_fma_f64 v[10:11], v[10:11], s[4:5], v[0:1]
	v_add_f64 v[0:1], v[2:3], v[74:75]
	v_add_f64 v[84:85], v[0:1], v[66:67]
	v_add_f64 v[0:1], v[74:75], v[66:67]
	v_fma_f64 v[0:1], v[0:1], -0.5, v[2:3]
	v_add_f64 v[2:3], v[78:79], -v[70:71]
	v_fma_f64 v[70:71], v[2:3], s[4:5], v[0:1]
	v_fma_f64 v[86:87], v[2:3], s[2:3], v[0:1]
	v_add_f64 v[0:1], v[80:81], v[72:73]
	v_add_f64 v[2:3], v[68:69], -v[60:61]
	v_add_f64 v[74:75], v[0:1], v[64:65]
	v_add_f64 v[0:1], v[72:73], v[64:65]
	v_fma_f64 v[0:1], v[0:1], -0.5, v[80:81]
	v_fma_f64 v[62:63], v[2:3], s[2:3], v[0:1]
	v_fma_f64 v[2:3], v[2:3], s[4:5], v[0:1]
	v_add_f64 v[0:1], v[76:77], v[68:69]
	v_add_f64 v[78:79], v[0:1], v[60:61]
	;; [unrolled: 1-line block ×3, first 2 shown]
	v_add_f64 v[60:61], v[72:73], -v[64:65]
	v_add_f64 v[64:65], v[8:9], v[74:75]
	v_add_f64 v[66:67], v[84:85], v[78:79]
	v_fma_f64 v[0:1], v[0:1], -0.5, v[76:77]
	v_add_f64 v[76:77], v[8:9], -v[74:75]
	v_add_f64 v[8:9], v[132:133], v[108:109]
	v_add_f64 v[78:79], v[84:85], -v[78:79]
	v_fma_f64 v[68:69], v[60:61], s[4:5], v[0:1]
	v_fma_f64 v[72:73], v[60:61], s[2:3], v[0:1]
	v_mul_f64 v[0:1], v[68:69], s[2:3]
	v_fma_f64 v[80:81], v[62:63], 0.5, v[0:1]
	v_mul_f64 v[0:1], v[2:3], -0.5
	v_mul_f64 v[62:63], v[62:63], s[4:5]
	v_add_f64 v[60:61], v[22:23], v[80:81]
	v_fma_f64 v[88:89], v[72:73], s[2:3], v[0:1]
	v_fma_f64 v[90:91], v[68:69], 0.5, v[62:63]
	v_mul_f64 v[68:69], v[72:73], -0.5
	v_add_f64 v[72:73], v[22:23], -v[80:81]
	v_add_f64 v[22:23], v[8:9], v[112:113]
	v_add_f64 v[8:9], v[108:109], v[112:113]
	;; [unrolled: 1-line block ×4, first 2 shown]
	v_fma_f64 v[92:93], v[2:3], s[4:5], v[68:69]
	v_add_f64 v[68:69], v[10:11], -v[88:89]
	v_add_f64 v[10:11], v[110:111], -v[114:115]
	v_fma_f64 v[8:9], v[8:9], -0.5, v[132:133]
	v_add_f64 v[74:75], v[70:71], -v[90:91]
	v_add_f64 v[2:3], v[86:87], v[92:93]
	v_add_f64 v[70:71], v[86:87], -v[92:93]
	v_fma_f64 v[80:81], v[10:11], s[2:3], v[8:9]
	v_fma_f64 v[92:93], v[10:11], s[4:5], v[8:9]
	v_add_f64 v[8:9], v[134:135], v[110:111]
	v_add_f64 v[10:11], v[108:109], -v[112:113]
	v_add_f64 v[104:105], v[8:9], v[114:115]
	v_add_f64 v[8:9], v[110:111], v[114:115]
	v_fma_f64 v[8:9], v[8:9], -0.5, v[134:135]
	v_fma_f64 v[108:109], v[10:11], s[4:5], v[8:9]
	v_fma_f64 v[112:113], v[10:11], s[2:3], v[8:9]
	v_add_f64 v[8:9], v[140:141], v[102:103]
	v_add_f64 v[10:11], v[106:107], -v[118:119]
	v_add_f64 v[110:111], v[8:9], v[116:117]
	v_add_f64 v[8:9], v[102:103], v[116:117]
	v_fma_f64 v[8:9], v[8:9], -0.5, v[140:141]
	;; [unrolled: 7-line block ×3, first 2 shown]
	v_fma_f64 v[102:103], v[10:11], s[4:5], v[8:9]
	v_fma_f64 v[106:107], v[10:11], s[2:3], v[8:9]
	v_add_f64 v[8:9], v[22:23], v[110:111]
	v_mul_f64 v[10:11], v[102:103], s[2:3]
	v_fma_f64 v[116:117], v[86:87], 0.5, v[10:11]
	v_mul_f64 v[86:87], v[86:87], s[4:5]
	v_mul_f64 v[10:11], v[90:91], -0.5
	v_add_f64 v[84:85], v[80:81], v[116:117]
	v_fma_f64 v[128:129], v[102:103], 0.5, v[86:87]
	v_mul_f64 v[102:103], v[106:107], -0.5
	v_fma_f64 v[118:119], v[106:107], s[2:3], v[10:11]
	v_add_f64 v[106:107], v[80:81], -v[116:117]
	v_add_f64 v[10:11], v[104:105], v[114:115]
	v_add_f64 v[104:105], v[104:105], -v[114:115]
	v_add_f64 v[86:87], v[108:109], v[128:129]
	v_fma_f64 v[130:131], v[90:91], s[4:5], v[102:103]
	v_add_f64 v[102:103], v[22:23], -v[110:111]
	v_add_f64 v[22:23], v[96:97], v[36:37]
	v_add_f64 v[88:89], v[92:93], v[118:119]
	v_add_f64 v[110:111], v[92:93], -v[118:119]
	v_add_f64 v[92:93], v[94:95], -v[100:101]
	;; [unrolled: 1-line block ×3, first 2 shown]
	v_add_f64 v[90:91], v[112:113], v[130:131]
	v_add_f64 v[112:113], v[112:113], -v[130:131]
	v_add_f64 v[80:81], v[22:23], v[121:122]
	v_add_f64 v[22:23], v[36:37], v[121:122]
	v_add_f64 v[36:37], v[36:37], -v[121:122]
	v_fma_f64 v[22:23], v[22:23], -0.5, v[96:97]
	v_fma_f64 v[96:97], v[92:93], s[2:3], v[22:23]
	v_fma_f64 v[114:115], v[92:93], s[4:5], v[22:23]
	v_add_f64 v[22:23], v[98:99], v[94:95]
	v_add_f64 v[116:117], v[22:23], v[100:101]
	;; [unrolled: 1-line block ×3, first 2 shown]
	v_fma_f64 v[22:23], v[22:23], -0.5, v[98:99]
	v_fma_f64 v[94:95], v[36:37], s[4:5], v[22:23]
	v_fma_f64 v[98:99], v[36:37], s[2:3], v[22:23]
	v_add_f64 v[22:23], v[150:151], v[82:83]
	v_add_f64 v[36:37], v[28:29], -v[20:21]
	v_add_f64 v[92:93], v[22:23], v[30:31]
	v_add_f64 v[22:23], v[82:83], v[30:31]
	v_fma_f64 v[22:23], v[22:23], -0.5, v[150:151]
	v_fma_f64 v[100:101], v[36:37], s[2:3], v[22:23]
	v_fma_f64 v[118:119], v[36:37], s[4:5], v[22:23]
	v_add_f64 v[22:23], v[38:39], v[28:29]
	v_add_f64 v[121:122], v[22:23], v[20:21]
	;; [unrolled: 1-line block ×3, first 2 shown]
	v_add_f64 v[22:23], v[82:83], -v[30:31]
	v_fma_f64 v[20:21], v[20:21], -0.5, v[38:39]
	v_fma_f64 v[30:31], v[22:23], s[4:5], v[20:21]
	v_fma_f64 v[38:39], v[22:23], s[2:3], v[20:21]
	v_add_f64 v[20:21], v[80:81], v[92:93]
	v_add_f64 v[80:81], v[80:81], -v[92:93]
	v_mul_f64 v[22:23], v[30:31], s[2:3]
	v_fma_f64 v[82:83], v[100:101], 0.5, v[22:23]
	v_mul_f64 v[22:23], v[118:119], -0.5
	v_mul_f64 v[100:101], v[100:101], s[4:5]
	v_add_f64 v[28:29], v[96:97], v[82:83]
	v_fma_f64 v[128:129], v[38:39], s[2:3], v[22:23]
	v_mul_f64 v[38:39], v[38:39], -0.5
	v_fma_f64 v[100:101], v[30:31], 0.5, v[100:101]
	v_add_f64 v[22:23], v[116:117], v[121:122]
	v_add_f64 v[92:93], v[96:97], -v[82:83]
	v_add_f64 v[82:83], v[116:117], -v[121:122]
	v_add_f64 v[36:37], v[114:115], v[128:129]
	v_fma_f64 v[118:119], v[118:119], s[4:5], v[38:39]
	v_add_f64 v[30:31], v[94:95], v[100:101]
	v_add_f64 v[96:97], v[114:115], -v[128:129]
	v_add_f64 v[94:95], v[94:95], -v[100:101]
	v_add_f64 v[38:39], v[98:99], v[118:119]
	v_add_f64 v[98:99], v[98:99], -v[118:119]
	ds_write_b128 v120, v[24:27]
	ds_write_b128 v120, v[124:127] offset:8640
	ds_write_b128 v120, v[136:139] offset:17280
	;; [unrolled: 1-line block ×29, first 2 shown]
	s_waitcnt lgkmcnt(0)
	s_barrier
	ds_read_b128 v[0:3], v120
	buffer_load_dword v4, off, s[36:39], 0 offset:1764 ; 4-byte Folded Reload
	buffer_load_dword v5, off, s[36:39], 0 offset:1768 ; 4-byte Folded Reload
	v_add_co_u32_e32 v12, vcc, s10, v158
	v_addc_co_u32_e32 v13, vcc, 0, v163, vcc
	s_mov_b32 s10, 0x10000
	v_add_co_u32_e32 v14, vcc, s10, v158
	v_addc_co_u32_e32 v15, vcc, 0, v163, vcc
	s_mov_b32 s10, 0x15000
	;; [unrolled: 3-line block ×4, first 2 shown]
	s_waitcnt vmcnt(0)
	global_load_dwordx4 v[4:7], v[4:5], off offset:2688
	s_waitcnt vmcnt(0) lgkmcnt(0)
	v_mul_f64 v[8:9], v[2:3], v[6:7]
	v_fma_f64 v[8:9], v[0:1], v[4:5], -v[8:9]
	v_mul_f64 v[0:1], v[0:1], v[6:7]
	v_fma_f64 v[10:11], v[2:3], v[4:5], v[0:1]
	global_load_dwordx4 v[4:7], v[14:15], off offset:3584
	ds_read_b128 v[0:3], v120 offset:17280
	ds_write_b128 v120, v[8:11]
	s_waitcnt vmcnt(0) lgkmcnt(1)
	v_mul_f64 v[8:9], v[2:3], v[6:7]
	v_fma_f64 v[8:9], v[0:1], v[4:5], -v[8:9]
	v_mul_f64 v[0:1], v[0:1], v[6:7]
	v_fma_f64 v[10:11], v[2:3], v[4:5], v[0:1]
	global_load_dwordx4 v[4:7], v[16:17], off offset:384
	ds_read_b128 v[0:3], v120 offset:34560
	ds_write_b128 v120, v[8:11] offset:17280
	s_waitcnt vmcnt(0) lgkmcnt(1)
	v_mul_f64 v[8:9], v[2:3], v[6:7]
	v_fma_f64 v[8:9], v[0:1], v[4:5], -v[8:9]
	v_mul_f64 v[0:1], v[0:1], v[6:7]
	v_fma_f64 v[10:11], v[2:3], v[4:5], v[0:1]
	global_load_dwordx4 v[4:7], v[12:13], off offset:1728
	ds_read_b128 v[0:3], v120 offset:1728
	ds_write_b128 v120, v[8:11] offset:34560
	;; [unrolled: 8-line block ×7, first 2 shown]
	s_waitcnt vmcnt(0) lgkmcnt(1)
	v_mul_f64 v[8:9], v[2:3], v[6:7]
	v_fma_f64 v[8:9], v[0:1], v[4:5], -v[8:9]
	v_mul_f64 v[0:1], v[0:1], v[6:7]
	v_fma_f64 v[10:11], v[2:3], v[4:5], v[0:1]
	v_add_co_u32_e32 v4, vcc, s10, v158
	v_addc_co_u32_e32 v5, vcc, 0, v163, vcc
	global_load_dwordx4 v[4:7], v[4:5], off offset:3776
	ds_read_b128 v[0:3], v120 offset:5184
	s_mov_b32 s10, 0x12000
	ds_write_b128 v120, v[8:11] offset:38016
	v_add_co_u32_e32 v12, vcc, s10, v158
	v_addc_co_u32_e32 v13, vcc, 0, v163, vcc
	s_mov_b32 s10, 0x16000
	v_add_co_u32_e32 v16, vcc, s10, v158
	v_addc_co_u32_e32 v17, vcc, 0, v163, vcc
	s_mov_b32 s10, 0xe000
	;; [unrolled: 3-line block ×3, first 2 shown]
	s_waitcnt vmcnt(0) lgkmcnt(1)
	v_mul_f64 v[8:9], v[2:3], v[6:7]
	v_fma_f64 v[8:9], v[0:1], v[4:5], -v[8:9]
	v_mul_f64 v[0:1], v[0:1], v[6:7]
	v_fma_f64 v[10:11], v[2:3], v[4:5], v[0:1]
	global_load_dwordx4 v[4:7], v[12:13], off offset:576
	ds_read_b128 v[0:3], v120 offset:22464
	ds_write_b128 v120, v[8:11] offset:5184
	s_waitcnt vmcnt(0) lgkmcnt(1)
	v_mul_f64 v[8:9], v[2:3], v[6:7]
	v_fma_f64 v[8:9], v[0:1], v[4:5], -v[8:9]
	v_mul_f64 v[0:1], v[0:1], v[6:7]
	v_fma_f64 v[10:11], v[2:3], v[4:5], v[0:1]
	global_load_dwordx4 v[4:7], v[16:17], off offset:1472
	ds_read_b128 v[0:3], v120 offset:39744
	ds_write_b128 v120, v[8:11] offset:22464
	;; [unrolled: 8-line block ×6, first 2 shown]
	s_waitcnt vmcnt(0) lgkmcnt(1)
	v_mul_f64 v[8:9], v[2:3], v[6:7]
	v_fma_f64 v[8:9], v[0:1], v[4:5], -v[8:9]
	v_mul_f64 v[0:1], v[0:1], v[6:7]
	v_fma_f64 v[10:11], v[2:3], v[4:5], v[0:1]
	global_load_dwordx4 v[4:7], v[12:13], off offset:4032
	ds_read_b128 v[0:3], v120 offset:25920
	v_add_co_u32_e32 v12, vcc, s10, v158
	v_addc_co_u32_e32 v13, vcc, 0, v163, vcc
	s_mov_b32 s10, 0xf000
	ds_write_b128 v120, v[8:11] offset:8640
	v_add_co_u32_e32 v16, vcc, s10, v158
	v_addc_co_u32_e32 v17, vcc, 0, v163, vcc
	s_mov_b32 s10, 0x13000
	v_add_co_u32_e32 v18, vcc, s10, v158
	v_addc_co_u32_e32 v19, vcc, 0, v163, vcc
	s_mov_b32 s10, 0x18000
	s_waitcnt vmcnt(0) lgkmcnt(1)
	v_mul_f64 v[8:9], v[2:3], v[6:7]
	v_fma_f64 v[8:9], v[0:1], v[4:5], -v[8:9]
	v_mul_f64 v[0:1], v[0:1], v[6:7]
	v_fma_f64 v[10:11], v[2:3], v[4:5], v[0:1]
	global_load_dwordx4 v[4:7], v[12:13], off offset:832
	ds_read_b128 v[0:3], v120 offset:43200
	ds_write_b128 v120, v[8:11] offset:25920
	s_waitcnt vmcnt(0) lgkmcnt(1)
	v_mul_f64 v[8:9], v[2:3], v[6:7]
	v_fma_f64 v[8:9], v[0:1], v[4:5], -v[8:9]
	v_mul_f64 v[0:1], v[0:1], v[6:7]
	v_fma_f64 v[10:11], v[2:3], v[4:5], v[0:1]
	global_load_dwordx4 v[4:7], v[16:17], off offset:768
	ds_read_b128 v[0:3], v120 offset:10368
	ds_write_b128 v120, v[8:11] offset:43200
	;; [unrolled: 8-line block ×6, first 2 shown]
	s_waitcnt vmcnt(0) lgkmcnt(1)
	v_mul_f64 v[8:9], v[2:3], v[6:7]
	v_fma_f64 v[8:9], v[0:1], v[4:5], -v[8:9]
	v_mul_f64 v[0:1], v[0:1], v[6:7]
	v_fma_f64 v[10:11], v[2:3], v[4:5], v[0:1]
	v_add_co_u32_e32 v4, vcc, s10, v158
	v_addc_co_u32_e32 v5, vcc, 0, v163, vcc
	ds_read_b128 v[0:3], v120 offset:46656
	s_mov_b32 s10, 0x14000
	v_add_co_u32_e32 v16, vcc, s10, v158
	ds_write_b128 v120, v[8:11] offset:29376
	global_load_dwordx4 v[6:9], v[4:5], off offset:192
	v_addc_co_u32_e32 v17, vcc, 0, v163, vcc
	s_waitcnt vmcnt(0) lgkmcnt(1)
	v_mul_f64 v[10:11], v[2:3], v[8:9]
	v_fma_f64 v[10:11], v[0:1], v[6:7], -v[10:11]
	v_mul_f64 v[0:1], v[0:1], v[8:9]
	v_fma_f64 v[12:13], v[2:3], v[6:7], v[0:1]
	global_load_dwordx4 v[6:9], v[14:15], off offset:128
	ds_read_b128 v[0:3], v120 offset:13824
	ds_write_b128 v120, v[10:13] offset:46656
	s_waitcnt vmcnt(0) lgkmcnt(1)
	v_mul_f64 v[10:11], v[2:3], v[8:9]
	v_fma_f64 v[10:11], v[0:1], v[6:7], -v[10:11]
	v_mul_f64 v[0:1], v[0:1], v[8:9]
	v_fma_f64 v[12:13], v[2:3], v[6:7], v[0:1]
	global_load_dwordx4 v[6:9], v[16:17], off offset:1024
	ds_read_b128 v[0:3], v120 offset:31104
	ds_write_b128 v120, v[10:13] offset:13824
	;; [unrolled: 8-line block ×6, first 2 shown]
	s_waitcnt vmcnt(0) lgkmcnt(1)
	v_mul_f64 v[8:9], v[2:3], v[6:7]
	v_fma_f64 v[8:9], v[0:1], v[4:5], -v[8:9]
	v_mul_f64 v[0:1], v[0:1], v[6:7]
	v_fma_f64 v[10:11], v[2:3], v[4:5], v[0:1]
	ds_write_b128 v120, v[8:11] offset:50112
	s_waitcnt lgkmcnt(0)
	s_barrier
	ds_read_b128 v[60:63], v120
	ds_read_b128 v[84:87], v120 offset:17280
	ds_read_b128 v[88:91], v120 offset:34560
	;; [unrolled: 1-line block ×29, first 2 shown]
	s_waitcnt lgkmcnt(14)
	v_add_f64 v[64:65], v[60:61], v[84:85]
	v_add_f64 v[66:67], v[86:87], -v[90:91]
	v_add_f64 v[121:122], v[128:129], -v[132:133]
	s_waitcnt lgkmcnt(0)
	s_barrier
	v_add_f64 v[68:69], v[64:65], v[88:89]
	v_add_f64 v[64:65], v[84:85], v[88:89]
	v_add_f64 v[84:85], v[84:85], -v[88:89]
	v_fma_f64 v[60:61], v[64:65], -0.5, v[60:61]
	v_fma_f64 v[64:65], v[66:67], s[4:5], v[60:61]
	v_fma_f64 v[60:61], v[66:67], s[2:3], v[60:61]
	v_add_f64 v[66:67], v[62:63], v[86:87]
	v_add_f64 v[70:71], v[66:67], v[90:91]
	;; [unrolled: 1-line block ×3, first 2 shown]
	v_add_f64 v[86:87], v[114:115], -v[118:119]
	v_fma_f64 v[62:63], v[66:67], -0.5, v[62:63]
	v_fma_f64 v[66:67], v[84:85], s[2:3], v[62:63]
	v_fma_f64 v[62:63], v[84:85], s[4:5], v[62:63]
	v_add_f64 v[84:85], v[108:109], v[112:113]
	v_add_f64 v[92:93], v[84:85], v[116:117]
	;; [unrolled: 1-line block ×3, first 2 shown]
	v_fma_f64 v[84:85], v[84:85], -0.5, v[108:109]
	v_add_f64 v[108:109], v[112:113], -v[116:117]
	v_fma_f64 v[88:89], v[86:87], s[4:5], v[84:85]
	v_fma_f64 v[84:85], v[86:87], s[2:3], v[84:85]
	v_add_f64 v[86:87], v[110:111], v[114:115]
	v_add_f64 v[94:95], v[86:87], v[118:119]
	;; [unrolled: 1-line block ×3, first 2 shown]
	v_fma_f64 v[86:87], v[86:87], -0.5, v[110:111]
	v_add_f64 v[110:111], v[130:131], -v[134:135]
	v_fma_f64 v[90:91], v[108:109], s[2:3], v[86:87]
	v_fma_f64 v[86:87], v[108:109], s[4:5], v[86:87]
	v_add_f64 v[108:109], v[124:125], v[128:129]
	v_add_f64 v[116:117], v[108:109], v[132:133]
	;; [unrolled: 1-line block ×3, first 2 shown]
	v_fma_f64 v[108:109], v[108:109], -0.5, v[124:125]
	v_fma_f64 v[112:113], v[110:111], s[4:5], v[108:109]
	v_fma_f64 v[108:109], v[110:111], s[2:3], v[108:109]
	v_add_f64 v[110:111], v[126:127], v[130:131]
	v_add_f64 v[118:119], v[110:111], v[134:135]
	;; [unrolled: 1-line block ×3, first 2 shown]
	v_fma_f64 v[110:111], v[110:111], -0.5, v[126:127]
	v_add_f64 v[126:127], v[98:99], -v[102:103]
	v_fma_f64 v[114:115], v[121:122], s[2:3], v[110:111]
	v_fma_f64 v[110:111], v[121:122], s[4:5], v[110:111]
	v_add_f64 v[121:122], v[104:105], v[96:97]
	v_add_f64 v[124:125], v[121:122], v[100:101]
	;; [unrolled: 1-line block ×3, first 2 shown]
	v_add_f64 v[96:97], v[96:97], -v[100:101]
	v_add_f64 v[100:101], v[74:75], -v[78:79]
	v_fma_f64 v[121:122], v[121:122], -0.5, v[104:105]
	v_fma_f64 v[104:105], v[126:127], s[4:5], v[121:122]
	v_fma_f64 v[128:129], v[126:127], s[2:3], v[121:122]
	v_add_f64 v[121:122], v[106:107], v[98:99]
	v_add_f64 v[98:99], v[98:99], v[102:103]
	v_add_f64 v[126:127], v[121:122], v[102:103]
	v_fma_f64 v[98:99], v[98:99], -0.5, v[106:107]
	v_fma_f64 v[106:107], v[96:97], s[2:3], v[98:99]
	v_fma_f64 v[130:131], v[96:97], s[4:5], v[98:99]
	v_add_f64 v[98:99], v[72:73], v[76:77]
	v_add_f64 v[96:97], v[80:81], v[72:73]
	v_add_f64 v[72:73], v[72:73], -v[76:77]
	v_fma_f64 v[98:99], v[98:99], -0.5, v[80:81]
	v_add_f64 v[96:97], v[96:97], v[76:77]
	v_add_f64 v[76:77], v[50:51], -v[54:55]
	v_fma_f64 v[80:81], v[100:101], s[4:5], v[98:99]
	v_fma_f64 v[100:101], v[100:101], s[2:3], v[98:99]
	v_add_f64 v[98:99], v[82:83], v[74:75]
	v_add_f64 v[74:75], v[74:75], v[78:79]
	v_add_f64 v[98:99], v[98:99], v[78:79]
	v_fma_f64 v[74:75], v[74:75], -0.5, v[82:83]
	v_fma_f64 v[82:83], v[72:73], s[2:3], v[74:75]
	v_fma_f64 v[102:103], v[72:73], s[4:5], v[74:75]
	v_add_f64 v[74:75], v[48:49], v[52:53]
	v_add_f64 v[72:73], v[56:57], v[48:49]
	v_add_f64 v[48:49], v[48:49], -v[52:53]
	v_fma_f64 v[74:75], v[74:75], -0.5, v[56:57]
	v_add_f64 v[72:73], v[72:73], v[52:53]
	v_add_f64 v[52:53], v[38:39], -v[42:43]
	;; [unrolled: 14-line block ×5, first 2 shown]
	v_fma_f64 v[20:21], v[28:29], s[4:5], v[26:27]
	v_fma_f64 v[28:29], v[28:29], s[2:3], v[26:27]
	v_add_f64 v[26:27], v[22:23], v[14:15]
	v_add_f64 v[14:15], v[14:15], v[18:19]
	;; [unrolled: 1-line block ×3, first 2 shown]
	v_fma_f64 v[14:15], v[14:15], -0.5, v[22:23]
	v_fma_f64 v[22:23], v[12:13], s[2:3], v[14:15]
	v_fma_f64 v[30:31], v[12:13], s[4:5], v[14:15]
	v_add_f64 v[14:15], v[0:1], v[4:5]
	v_add_f64 v[12:13], v[8:9], v[0:1]
	v_add_f64 v[0:1], v[0:1], -v[4:5]
	v_fma_f64 v[14:15], v[14:15], -0.5, v[8:9]
	v_add_f64 v[12:13], v[12:13], v[4:5]
	v_fma_f64 v[8:9], v[16:17], s[4:5], v[14:15]
	v_fma_f64 v[16:17], v[16:17], s[2:3], v[14:15]
	v_add_f64 v[14:15], v[10:11], v[2:3]
	v_add_f64 v[2:3], v[2:3], v[6:7]
	v_add_f64 v[14:15], v[14:15], v[6:7]
	v_fma_f64 v[2:3], v[2:3], -0.5, v[10:11]
	v_fma_f64 v[10:11], v[0:1], s[2:3], v[2:3]
	v_fma_f64 v[18:19], v[0:1], s[4:5], v[2:3]
	buffer_load_dword v0, off, s[36:39], 0 offset:604 ; 4-byte Folded Reload
	s_waitcnt vmcnt(0)
	ds_write_b128 v0, v[68:71]
	ds_write_b128 v0, v[64:67] offset:16
	ds_write_b128 v0, v[60:63] offset:32
	buffer_load_dword v0, off, s[36:39], 0 offset:584 ; 4-byte Folded Reload
	s_waitcnt vmcnt(0)
	ds_write_b128 v0, v[92:95]
	ds_write_b128 v0, v[88:91] offset:16
	ds_write_b128 v0, v[84:87] offset:32
	;; [unrolled: 5-line block ×10, first 2 shown]
	s_waitcnt lgkmcnt(0)
	s_barrier
	ds_read_b128 v[0:3], v120
	ds_read_b128 v[4:7], v120 offset:17280
	ds_read_b128 v[8:11], v120 offset:34560
	;; [unrolled: 1-line block ×29, first 2 shown]
	buffer_load_dword v124, off, s[36:39], 0 offset:508 ; 4-byte Folded Reload
	buffer_load_dword v125, off, s[36:39], 0 offset:512 ; 4-byte Folded Reload
	;; [unrolled: 1-line block ×4, first 2 shown]
	s_waitcnt vmcnt(0) lgkmcnt(14)
	v_mul_f64 v[121:122], v[126:127], v[6:7]
	v_fma_f64 v[121:122], v[124:125], v[4:5], v[121:122]
	v_mul_f64 v[4:5], v[126:127], v[4:5]
	v_fma_f64 v[4:5], v[124:125], v[6:7], -v[4:5]
	buffer_load_dword v124, off, s[36:39], 0 offset:492 ; 4-byte Folded Reload
	buffer_load_dword v125, off, s[36:39], 0 offset:496 ; 4-byte Folded Reload
	;; [unrolled: 1-line block ×4, first 2 shown]
	s_waitcnt vmcnt(0)
	v_mul_f64 v[6:7], v[126:127], v[10:11]
	v_fma_f64 v[6:7], v[124:125], v[8:9], v[6:7]
	v_mul_f64 v[8:9], v[126:127], v[8:9]
	buffer_load_dword v126, off, s[36:39], 0 offset:556 ; 4-byte Folded Reload
	buffer_load_dword v127, off, s[36:39], 0 offset:560 ; 4-byte Folded Reload
	;; [unrolled: 1-line block ×4, first 2 shown]
	v_fma_f64 v[10:11], v[124:125], v[10:11], -v[8:9]
	s_waitcnt vmcnt(0)
	v_mul_f64 v[8:9], v[128:129], v[18:19]
	v_fma_f64 v[124:125], v[126:127], v[16:17], v[8:9]
	v_mul_f64 v[8:9], v[128:129], v[16:17]
	v_fma_f64 v[126:127], v[126:127], v[18:19], -v[8:9]
	buffer_load_dword v16, off, s[36:39], 0 offset:540 ; 4-byte Folded Reload
	buffer_load_dword v17, off, s[36:39], 0 offset:544 ; 4-byte Folded Reload
	;; [unrolled: 1-line block ×4, first 2 shown]
	s_waitcnt vmcnt(0)
	v_mul_f64 v[8:9], v[18:19], v[22:23]
	v_fma_f64 v[128:129], v[16:17], v[20:21], v[8:9]
	v_mul_f64 v[8:9], v[18:19], v[20:21]
	v_fma_f64 v[130:131], v[16:17], v[22:23], -v[8:9]
	buffer_load_dword v16, off, s[36:39], 0 offset:608 ; 4-byte Folded Reload
	buffer_load_dword v17, off, s[36:39], 0 offset:612 ; 4-byte Folded Reload
	;; [unrolled: 1-line block ×4, first 2 shown]
	s_waitcnt vmcnt(0)
	v_mul_f64 v[8:9], v[18:19], v[30:31]
	v_fma_f64 v[132:133], v[16:17], v[28:29], v[8:9]
	v_mul_f64 v[8:9], v[18:19], v[28:29]
	v_add_f64 v[28:29], v[124:125], -v[128:129]
	v_fma_f64 v[134:135], v[16:17], v[30:31], -v[8:9]
	buffer_load_dword v16, off, s[36:39], 0 offset:588 ; 4-byte Folded Reload
	buffer_load_dword v17, off, s[36:39], 0 offset:592 ; 4-byte Folded Reload
	;; [unrolled: 1-line block ×4, first 2 shown]
	s_waitcnt vmcnt(0)
	v_mul_f64 v[8:9], v[18:19], v[38:39]
	v_fma_f64 v[136:137], v[16:17], v[36:37], v[8:9]
	v_mul_f64 v[8:9], v[18:19], v[36:37]
	v_add_f64 v[30:31], v[132:133], v[136:137]
	v_fma_f64 v[38:39], v[16:17], v[38:39], -v[8:9]
	buffer_load_dword v16, off, s[36:39], 0 offset:640 ; 4-byte Folded Reload
	buffer_load_dword v17, off, s[36:39], 0 offset:644 ; 4-byte Folded Reload
	;; [unrolled: 1-line block ×4, first 2 shown]
	v_fma_f64 v[30:31], v[30:31], -0.5, v[32:33]
	v_add_f64 v[36:37], v[134:135], -v[38:39]
	s_waitcnt vmcnt(0)
	v_mul_f64 v[8:9], v[18:19], v[42:43]
	v_fma_f64 v[138:139], v[16:17], v[40:41], v[8:9]
	v_mul_f64 v[8:9], v[18:19], v[40:41]
	v_add_f64 v[40:41], v[132:133], -v[136:137]
	v_fma_f64 v[140:141], v[16:17], v[42:43], -v[8:9]
	buffer_load_dword v16, off, s[36:39], 0 offset:624 ; 4-byte Folded Reload
	buffer_load_dword v17, off, s[36:39], 0 offset:628 ; 4-byte Folded Reload
	;; [unrolled: 1-line block ×4, first 2 shown]
	s_waitcnt vmcnt(0)
	v_mul_f64 v[8:9], v[18:19], v[58:59]
	v_fma_f64 v[142:143], v[16:17], v[56:57], v[8:9]
	v_mul_f64 v[8:9], v[18:19], v[56:57]
	v_add_f64 v[42:43], v[138:139], v[142:143]
	v_fma_f64 v[56:57], v[16:17], v[58:59], -v[8:9]
	buffer_load_dword v16, off, s[36:39], 0 offset:700 ; 4-byte Folded Reload
	buffer_load_dword v17, off, s[36:39], 0 offset:704 ; 4-byte Folded Reload
	;; [unrolled: 1-line block ×4, first 2 shown]
	v_fma_f64 v[42:43], v[42:43], -0.5, v[44:45]
	s_waitcnt vmcnt(0)
	v_mul_f64 v[8:9], v[18:19], v[62:63]
	v_fma_f64 v[58:59], v[16:17], v[60:61], v[8:9]
	v_mul_f64 v[8:9], v[18:19], v[60:61]
	v_fma_f64 v[62:63], v[16:17], v[62:63], -v[8:9]
	buffer_load_dword v16, off, s[36:39], 0 offset:748 ; 4-byte Folded Reload
	buffer_load_dword v17, off, s[36:39], 0 offset:752 ; 4-byte Folded Reload
	;; [unrolled: 1-line block ×4, first 2 shown]
	s_waitcnt vmcnt(0)
	v_mul_f64 v[8:9], v[18:19], v[66:67]
	v_fma_f64 v[144:145], v[16:17], v[64:65], v[8:9]
	v_mul_f64 v[8:9], v[18:19], v[64:65]
	v_add_f64 v[64:65], v[140:141], -v[56:57]
	v_fma_f64 v[66:67], v[16:17], v[66:67], -v[8:9]
	buffer_load_dword v16, off, s[36:39], 0 offset:768 ; 4-byte Folded Reload
	buffer_load_dword v17, off, s[36:39], 0 offset:772 ; 4-byte Folded Reload
	;; [unrolled: 1-line block ×4, first 2 shown]
	s_waitcnt vmcnt(0) lgkmcnt(13)
	v_mul_f64 v[8:9], v[18:19], v[70:71]
	v_fma_f64 v[146:147], v[16:17], v[68:69], v[8:9]
	v_mul_f64 v[8:9], v[18:19], v[68:69]
	v_fma_f64 v[148:149], v[16:17], v[70:71], -v[8:9]
	buffer_load_dword v16, off, s[36:39], 0 offset:784 ; 4-byte Folded Reload
	buffer_load_dword v17, off, s[36:39], 0 offset:788 ; 4-byte Folded Reload
	;; [unrolled: 1-line block ×4, first 2 shown]
	s_waitcnt vmcnt(0) lgkmcnt(12)
	v_mul_f64 v[8:9], v[18:19], v[74:75]
	v_fma_f64 v[150:151], v[16:17], v[72:73], v[8:9]
	v_mul_f64 v[8:9], v[18:19], v[72:73]
	v_fma_f64 v[72:73], v[64:65], s[2:3], v[42:43]
	v_fma_f64 v[154:155], v[16:17], v[74:75], -v[8:9]
	buffer_load_dword v16, off, s[36:39], 0 offset:884 ; 4-byte Folded Reload
	buffer_load_dword v17, off, s[36:39], 0 offset:888 ; 4-byte Folded Reload
	buffer_load_dword v18, off, s[36:39], 0 offset:892 ; 4-byte Folded Reload
	buffer_load_dword v19, off, s[36:39], 0 offset:896 ; 4-byte Folded Reload
	s_waitcnt vmcnt(0) lgkmcnt(10)
	v_mul_f64 v[8:9], v[18:19], v[86:87]
	v_fma_f64 v[60:61], v[16:17], v[84:85], v[8:9]
	v_mul_f64 v[8:9], v[18:19], v[84:85]
	v_fma_f64 v[84:85], v[16:17], v[86:87], -v[8:9]
	buffer_load_dword v16, off, s[36:39], 0 offset:900 ; 4-byte Folded Reload
	buffer_load_dword v17, off, s[36:39], 0 offset:904 ; 4-byte Folded Reload
	buffer_load_dword v18, off, s[36:39], 0 offset:908 ; 4-byte Folded Reload
	buffer_load_dword v19, off, s[36:39], 0 offset:912 ; 4-byte Folded Reload
	s_waitcnt vmcnt(0) lgkmcnt(9)
	v_mul_f64 v[8:9], v[18:19], v[94:95]
	v_fma_f64 v[86:87], v[16:17], v[92:93], v[8:9]
	v_mul_f64 v[8:9], v[18:19], v[92:93]
	;; [unrolled: 9-line block ×7, first 2 shown]
	v_fma_f64 v[112:113], v[16:17], v[114:115], -v[8:9]
	buffer_load_dword v16, off, s[36:39], 0 offset:1076 ; 4-byte Folded Reload
	buffer_load_dword v17, off, s[36:39], 0 offset:1080 ; 4-byte Folded Reload
	;; [unrolled: 1-line block ×4, first 2 shown]
	s_waitcnt vmcnt(0) lgkmcnt(0)
	s_barrier
	v_mul_f64 v[8:9], v[18:19], v[118:119]
	v_fma_f64 v[114:115], v[16:17], v[116:117], v[8:9]
	v_mul_f64 v[8:9], v[18:19], v[116:117]
	v_add_f64 v[116:117], v[84:85], -v[94:95]
	v_fma_f64 v[118:119], v[16:17], v[118:119], -v[8:9]
	v_add_f64 v[8:9], v[0:1], v[121:122]
	v_add_f64 v[16:17], v[4:5], -v[10:11]
	v_add_f64 v[20:21], v[8:9], v[6:7]
	v_add_f64 v[8:9], v[121:122], v[6:7]
	v_fma_f64 v[0:1], v[8:9], -0.5, v[0:1]
	v_fma_f64 v[8:9], v[16:17], s[4:5], v[0:1]
	v_fma_f64 v[16:17], v[16:17], s[2:3], v[0:1]
	v_add_f64 v[0:1], v[2:3], v[4:5]
	v_add_f64 v[22:23], v[0:1], v[10:11]
	;; [unrolled: 1-line block ×3, first 2 shown]
	v_fma_f64 v[0:1], v[0:1], -0.5, v[2:3]
	v_add_f64 v[2:3], v[121:122], -v[6:7]
	v_add_f64 v[6:7], v[126:127], -v[130:131]
	v_fma_f64 v[10:11], v[2:3], s[2:3], v[0:1]
	v_fma_f64 v[18:19], v[2:3], s[4:5], v[0:1]
	v_add_f64 v[2:3], v[124:125], v[128:129]
	v_add_f64 v[0:1], v[12:13], v[124:125]
	v_fma_f64 v[2:3], v[2:3], -0.5, v[12:13]
	v_add_f64 v[0:1], v[0:1], v[128:129]
	v_fma_f64 v[4:5], v[6:7], s[4:5], v[2:3]
	v_fma_f64 v[12:13], v[6:7], s[2:3], v[2:3]
	v_add_f64 v[6:7], v[126:127], v[130:131]
	v_add_f64 v[2:3], v[14:15], v[126:127]
	v_fma_f64 v[14:15], v[6:7], -0.5, v[14:15]
	v_add_f64 v[2:3], v[2:3], v[130:131]
	v_fma_f64 v[6:7], v[28:29], s[2:3], v[14:15]
	v_fma_f64 v[14:15], v[28:29], s[4:5], v[14:15]
	v_add_f64 v[28:29], v[32:33], v[132:133]
	v_fma_f64 v[32:33], v[36:37], s[4:5], v[30:31]
	v_fma_f64 v[36:37], v[36:37], s[2:3], v[30:31]
	v_add_f64 v[30:31], v[34:35], v[134:135]
	v_add_f64 v[28:29], v[28:29], v[136:137]
	;; [unrolled: 1-line block ×4, first 2 shown]
	v_fma_f64 v[38:39], v[38:39], -0.5, v[34:35]
	v_fma_f64 v[34:35], v[40:41], s[2:3], v[38:39]
	v_fma_f64 v[38:39], v[40:41], s[4:5], v[38:39]
	v_add_f64 v[40:41], v[44:45], v[138:139]
	v_fma_f64 v[44:45], v[64:65], s[4:5], v[42:43]
	v_add_f64 v[42:43], v[46:47], v[140:141]
	v_add_f64 v[64:65], v[138:139], -v[142:143]
	v_add_f64 v[40:41], v[40:41], v[142:143]
	v_add_f64 v[42:43], v[42:43], v[56:57]
	;; [unrolled: 1-line block ×3, first 2 shown]
	v_fma_f64 v[56:57], v[56:57], -0.5, v[46:47]
	v_fma_f64 v[46:47], v[64:65], s[2:3], v[56:57]
	v_fma_f64 v[74:75], v[64:65], s[4:5], v[56:57]
	v_add_f64 v[56:57], v[52:53], v[58:59]
	v_add_f64 v[68:69], v[56:57], v[144:145]
	;; [unrolled: 1-line block ×3, first 2 shown]
	v_fma_f64 v[52:53], v[56:57], -0.5, v[52:53]
	v_add_f64 v[56:57], v[62:63], -v[66:67]
	v_fma_f64 v[64:65], v[56:57], s[4:5], v[52:53]
	v_fma_f64 v[124:125], v[56:57], s[2:3], v[52:53]
	v_add_f64 v[52:53], v[54:55], v[62:63]
	v_add_f64 v[70:71], v[52:53], v[66:67]
	;; [unrolled: 1-line block ×3, first 2 shown]
	v_add_f64 v[62:63], v[146:147], -v[150:151]
	v_fma_f64 v[52:53], v[52:53], -0.5, v[54:55]
	v_add_f64 v[54:55], v[58:59], -v[144:145]
	v_fma_f64 v[66:67], v[54:55], s[2:3], v[52:53]
	v_fma_f64 v[126:127], v[54:55], s[4:5], v[52:53]
	v_add_f64 v[52:53], v[48:49], v[146:147]
	v_add_f64 v[54:55], v[148:149], -v[154:155]
	v_add_f64 v[56:57], v[52:53], v[150:151]
	v_add_f64 v[52:53], v[146:147], v[150:151]
	v_fma_f64 v[48:49], v[52:53], -0.5, v[48:49]
	v_fma_f64 v[52:53], v[54:55], s[4:5], v[48:49]
	v_fma_f64 v[48:49], v[54:55], s[2:3], v[48:49]
	v_add_f64 v[54:55], v[50:51], v[148:149]
	v_add_f64 v[58:59], v[54:55], v[154:155]
	v_add_f64 v[54:55], v[148:149], v[154:155]
	v_fma_f64 v[50:51], v[54:55], -0.5, v[50:51]
	v_fma_f64 v[54:55], v[62:63], s[2:3], v[50:51]
	v_fma_f64 v[50:51], v[62:63], s[4:5], v[50:51]
	v_add_f64 v[62:63], v[88:89], v[60:61]
	v_add_f64 v[128:129], v[62:63], v[86:87]
	;; [unrolled: 1-line block ×3, first 2 shown]
	v_add_f64 v[60:61], v[60:61], -v[86:87]
	v_add_f64 v[86:87], v[96:97], v[102:103]
	v_fma_f64 v[62:63], v[62:63], -0.5, v[88:89]
	v_fma_f64 v[88:89], v[116:117], s[4:5], v[62:63]
	v_fma_f64 v[132:133], v[116:117], s[2:3], v[62:63]
	v_add_f64 v[62:63], v[90:91], v[84:85]
	v_add_f64 v[130:131], v[62:63], v[94:95]
	;; [unrolled: 1-line block ×4, first 2 shown]
	v_fma_f64 v[62:63], v[62:63], -0.5, v[90:91]
	v_fma_f64 v[94:95], v[94:95], -0.5, v[76:77]
	v_fma_f64 v[90:91], v[60:61], s[2:3], v[62:63]
	v_fma_f64 v[134:135], v[60:61], s[4:5], v[62:63]
	v_add_f64 v[62:63], v[92:93], v[98:99]
	v_add_f64 v[60:61], v[24:25], v[92:93]
	v_add_f64 v[92:93], v[92:93], -v[98:99]
	v_fma_f64 v[24:25], v[62:63], -0.5, v[24:25]
	v_add_f64 v[62:63], v[96:97], -v[102:103]
	v_add_f64 v[60:61], v[60:61], v[98:99]
	v_add_f64 v[98:99], v[104:105], v[110:111]
	v_fma_f64 v[84:85], v[62:63], s[4:5], v[24:25]
	v_fma_f64 v[24:25], v[62:63], s[2:3], v[24:25]
	v_add_f64 v[62:63], v[26:27], v[96:97]
	v_fma_f64 v[26:27], v[86:87], -0.5, v[26:27]
	v_add_f64 v[96:97], v[104:105], -v[110:111]
	v_fma_f64 v[98:99], v[98:99], -0.5, v[78:79]
	v_add_f64 v[62:63], v[62:63], v[102:103]
	v_add_f64 v[102:103], v[108:109], v[114:115]
	v_fma_f64 v[86:87], v[92:93], s[2:3], v[26:27]
	v_fma_f64 v[26:27], v[92:93], s[4:5], v[26:27]
	v_add_f64 v[92:93], v[76:77], v[100:101]
	v_fma_f64 v[76:77], v[96:97], s[4:5], v[94:95]
	v_fma_f64 v[96:97], v[96:97], s[2:3], v[94:95]
	v_add_f64 v[94:95], v[78:79], v[104:105]
	v_add_f64 v[100:101], v[100:101], -v[106:107]
	v_fma_f64 v[102:103], v[102:103], -0.5, v[80:81]
	v_add_f64 v[104:105], v[112:113], -v[118:119]
	v_add_f64 v[92:93], v[92:93], v[106:107]
	v_add_f64 v[106:107], v[108:109], -v[114:115]
	v_add_f64 v[94:95], v[94:95], v[110:111]
	v_fma_f64 v[78:79], v[100:101], s[2:3], v[98:99]
	v_fma_f64 v[98:99], v[100:101], s[4:5], v[98:99]
	v_add_f64 v[100:101], v[80:81], v[108:109]
	v_fma_f64 v[80:81], v[104:105], s[4:5], v[102:103]
	v_fma_f64 v[116:117], v[104:105], s[2:3], v[102:103]
	v_add_f64 v[104:105], v[112:113], v[118:119]
	v_add_f64 v[102:103], v[82:83], v[112:113]
	;; [unrolled: 1-line block ×3, first 2 shown]
	v_fma_f64 v[104:105], v[104:105], -0.5, v[82:83]
	v_add_f64 v[102:103], v[102:103], v[118:119]
	v_fma_f64 v[82:83], v[106:107], s[2:3], v[104:105]
	v_fma_f64 v[118:119], v[106:107], s[4:5], v[104:105]
	buffer_load_dword v104, off, s[36:39], 0 offset:1092 ; 4-byte Folded Reload
	s_waitcnt vmcnt(0)
	ds_write_b128 v104, v[20:23]
	ds_write_b128 v104, v[8:11] offset:48
	ds_write_b128 v104, v[16:19] offset:96
	buffer_load_dword v8, off, s[36:39], 0 offset:1056 ; 4-byte Folded Reload
	s_waitcnt vmcnt(0)
	ds_write_b128 v8, v[0:3]
	ds_write_b128 v8, v[4:7] offset:48
	ds_write_b128 v8, v[12:15] offset:96
	;; [unrolled: 5-line block ×10, first 2 shown]
	s_waitcnt lgkmcnt(0)
	s_barrier
	ds_read_b128 v[8:11], v120
	ds_read_b128 v[12:15], v120 offset:5184
	ds_read_b128 v[16:19], v120 offset:10368
	;; [unrolled: 1-line block ×29, first 2 shown]
	buffer_load_dword v0, off, s[36:39], 0 offset:668 ; 4-byte Folded Reload
	buffer_load_dword v1, off, s[36:39], 0 offset:672 ; 4-byte Folded Reload
	;; [unrolled: 1-line block ×4, first 2 shown]
	s_waitcnt vmcnt(0) lgkmcnt(14)
	v_mul_f64 v[92:93], v[2:3], v[14:15]
	v_fma_f64 v[121:122], v[0:1], v[12:13], v[92:93]
	v_mul_f64 v[12:13], v[2:3], v[12:13]
	v_fma_f64 v[136:137], v[0:1], v[14:15], -v[12:13]
	buffer_load_dword v0, off, s[36:39], 0 offset:684 ; 4-byte Folded Reload
	buffer_load_dword v1, off, s[36:39], 0 offset:688 ; 4-byte Folded Reload
	buffer_load_dword v2, off, s[36:39], 0 offset:692 ; 4-byte Folded Reload
	buffer_load_dword v3, off, s[36:39], 0 offset:696 ; 4-byte Folded Reload
	s_waitcnt vmcnt(0)
	v_mul_f64 v[12:13], v[2:3], v[18:19]
	v_fma_f64 v[138:139], v[0:1], v[16:17], v[12:13]
	v_mul_f64 v[12:13], v[2:3], v[16:17]
	v_fma_f64 v[140:141], v[0:1], v[18:19], -v[12:13]
	buffer_load_dword v0, off, s[36:39], 0 offset:716 ; 4-byte Folded Reload
	buffer_load_dword v1, off, s[36:39], 0 offset:720 ; 4-byte Folded Reload
	buffer_load_dword v2, off, s[36:39], 0 offset:724 ; 4-byte Folded Reload
	buffer_load_dword v3, off, s[36:39], 0 offset:728 ; 4-byte Folded Reload
	s_waitcnt vmcnt(0)
	;; [unrolled: 9-line block ×8, first 2 shown]
	v_mul_f64 v[2:3], v[14:15], v[46:47]
	v_fma_f64 v[6:7], v[12:13], v[44:45], v[2:3]
	v_mul_f64 v[2:3], v[14:15], v[44:45]
	v_fma_f64 v[44:45], v[12:13], v[46:47], -v[2:3]
	buffer_load_dword v12, off, s[36:39], 0 offset:960 ; 4-byte Folded Reload
	buffer_load_dword v13, off, s[36:39], 0 offset:964 ; 4-byte Folded Reload
	buffer_load_dword v14, off, s[36:39], 0 offset:968 ; 4-byte Folded Reload
	buffer_load_dword v15, off, s[36:39], 0 offset:972 ; 4-byte Folded Reload
	s_waitcnt lgkmcnt(8)
	v_mul_f64 v[46:47], v[230:231], v[86:87]
	s_waitcnt vmcnt(0)
	v_mul_f64 v[2:3], v[14:15], v[50:51]
	v_fma_f64 v[20:21], v[12:13], v[48:49], v[2:3]
	v_mul_f64 v[2:3], v[14:15], v[48:49]
	buffer_load_dword v14, off, s[36:39], 0 offset:992 ; 4-byte Folded Reload
	buffer_load_dword v15, off, s[36:39], 0 offset:996 ; 4-byte Folded Reload
	;; [unrolled: 1-line block ×4, first 2 shown]
	v_add_f64 v[48:49], v[146:147], v[92:93]
	v_fma_f64 v[12:13], v[12:13], v[50:51], -v[2:3]
	v_add_f64 v[50:51], v[140:141], -v[0:1]
	v_fma_f64 v[48:49], v[48:49], -0.5, v[8:9]
	s_waitcnt vmcnt(0)
	v_mul_f64 v[2:3], v[16:17], v[54:55]
	v_fma_f64 v[36:37], v[14:15], v[52:53], v[2:3]
	v_mul_f64 v[2:3], v[16:17], v[52:53]
	v_fma_f64 v[52:53], v[50:51], s[16:17], v[48:49]
	v_fma_f64 v[48:49], v[50:51], s[6:7], v[48:49]
	v_fma_f64 v[32:33], v[14:15], v[54:55], -v[2:3]
	buffer_load_dword v14, off, s[36:39], 0 offset:1040 ; 4-byte Folded Reload
	buffer_load_dword v15, off, s[36:39], 0 offset:1044 ; 4-byte Folded Reload
	;; [unrolled: 1-line block ×8, first 2 shown]
	v_add_f64 v[54:55], v[148:149], -v[94:95]
	v_fma_f64 v[48:49], v[54:55], s[8:9], v[48:49]
	v_fma_f64 v[52:53], v[54:55], s[18:19], v[52:53]
	s_waitcnt vmcnt(4)
	v_mul_f64 v[2:3], v[16:17], v[58:59]
	v_fma_f64 v[18:19], v[14:15], v[56:57], v[2:3]
	v_mul_f64 v[2:3], v[16:17], v[56:57]
	v_add_f64 v[56:57], v[138:139], -v[146:147]
	v_fma_f64 v[14:15], v[14:15], v[58:59], -v[2:3]
	s_waitcnt vmcnt(0)
	v_mul_f64 v[2:3], v[24:25], v[62:63]
	v_add_f64 v[58:59], v[96:97], -v[92:93]
	v_fma_f64 v[38:39], v[22:23], v[60:61], v[2:3]
	v_mul_f64 v[2:3], v[24:25], v[60:61]
	buffer_load_dword v24, off, s[36:39], 0 offset:1096 ; 4-byte Folded Reload
	buffer_load_dword v25, off, s[36:39], 0 offset:1100 ; 4-byte Folded Reload
	;; [unrolled: 1-line block ×8, first 2 shown]
	v_add_f64 v[56:57], v[56:57], v[58:59]
	v_add_f64 v[60:61], v[92:93], -v[96:97]
	v_fma_f64 v[34:35], v[22:23], v[62:63], -v[2:3]
	v_mul_f64 v[2:3], v[254:255], v[66:67]
	v_add_f64 v[62:63], v[146:147], -v[92:93]
	v_fma_f64 v[58:59], v[56:57], s[14:15], v[48:49]
	v_add_f64 v[48:49], v[138:139], v[96:97]
	v_fma_f64 v[52:53], v[56:57], s[14:15], v[52:53]
	v_add_f64 v[56:57], v[146:147], -v[138:139]
	v_fma_f64 v[22:23], v[252:253], v[64:65], v[2:3]
	v_mul_f64 v[2:3], v[254:255], v[64:65]
	v_add_f64 v[64:65], v[140:141], -v[148:149]
	v_add_f64 v[56:57], v[56:57], v[60:61]
	v_fma_f64 v[16:17], v[252:253], v[66:67], -v[2:3]
	v_add_f64 v[66:67], v[0:1], -v[94:95]
	v_add_f64 v[64:65], v[64:65], v[66:67]
	v_add_f64 v[66:67], v[142:143], -v[150:151]
	s_waitcnt vmcnt(4)
	v_mul_f64 v[2:3], v[26:27], v[70:71]
	v_fma_f64 v[42:43], v[24:25], v[68:69], v[2:3]
	v_mul_f64 v[2:3], v[26:27], v[68:69]
	v_fma_f64 v[40:41], v[24:25], v[70:71], -v[2:3]
	s_waitcnt vmcnt(0)
	v_mul_f64 v[2:3], v[30:31], v[74:75]
	v_fma_f64 v[26:27], v[28:29], v[72:73], v[2:3]
	v_mul_f64 v[2:3], v[30:31], v[72:73]
	v_fma_f64 v[24:25], v[28:29], v[74:75], -v[2:3]
	buffer_load_dword v28, off, s[36:39], 0 offset:1112 ; 4-byte Folded Reload
	buffer_load_dword v29, off, s[36:39], 0 offset:1116 ; 4-byte Folded Reload
	;; [unrolled: 1-line block ×4, first 2 shown]
	s_waitcnt vmcnt(0) lgkmcnt(0)
	s_barrier
	v_mul_f64 v[2:3], v[30:31], v[78:79]
	v_fma_f64 v[68:69], v[28:29], v[76:77], v[2:3]
	v_mul_f64 v[2:3], v[30:31], v[76:77]
	v_fma_f64 v[2:3], v[28:29], v[78:79], -v[2:3]
	v_mul_f64 v[28:29], v[250:251], v[82:83]
	v_fma_f64 v[30:31], v[248:249], v[80:81], v[28:29]
	v_mul_f64 v[28:29], v[250:251], v[80:81]
	v_fma_f64 v[80:81], v[228:229], v[84:85], v[46:47]
	v_mul_f64 v[46:47], v[230:231], v[84:85]
	v_fma_f64 v[28:29], v[248:249], v[82:83], -v[28:29]
	v_fma_f64 v[72:73], v[228:229], v[86:87], -v[46:47]
	v_mul_f64 v[46:47], v[234:235], v[90:91]
	v_fma_f64 v[70:71], v[232:233], v[88:89], v[46:47]
	v_mul_f64 v[46:47], v[234:235], v[88:89]
	v_fma_f64 v[228:229], v[232:233], v[90:91], -v[46:47]
	v_mul_f64 v[46:47], v[238:239], v[100:101]
	v_fma_f64 v[78:79], v[236:237], v[98:99], v[46:47]
	v_mul_f64 v[46:47], v[238:239], v[98:99]
	v_fma_f64 v[74:75], v[236:237], v[100:101], -v[46:47]
	v_mul_f64 v[46:47], v[246:247], v[104:105]
	v_fma_f64 v[100:101], v[244:245], v[102:103], v[46:47]
	v_mul_f64 v[46:47], v[246:247], v[102:103]
	v_fma_f64 v[230:231], v[244:245], v[104:105], -v[46:47]
	v_mul_f64 v[46:47], v[202:203], v[114:115]
	v_fma_f64 v[84:85], v[200:201], v[112:113], v[46:47]
	v_mul_f64 v[46:47], v[202:203], v[112:113]
	v_fma_f64 v[76:77], v[200:201], v[114:115], -v[46:47]
	v_mul_f64 v[46:47], v[210:211], v[118:119]
	v_fma_f64 v[104:105], v[208:209], v[116:117], v[46:47]
	v_mul_f64 v[46:47], v[210:211], v[116:117]
	v_add_f64 v[116:117], v[106:107], -v[6:7]
	v_fma_f64 v[98:99], v[208:209], v[118:119], -v[46:47]
	v_mul_f64 v[46:47], v[218:219], v[126:127]
	v_fma_f64 v[88:89], v[216:217], v[124:125], v[46:47]
	v_mul_f64 v[46:47], v[218:219], v[124:125]
	v_fma_f64 v[82:83], v[216:217], v[126:127], -v[46:47]
	v_mul_f64 v[46:47], v[226:227], v[130:131]
	v_fma_f64 v[112:113], v[224:225], v[128:129], v[46:47]
	v_mul_f64 v[46:47], v[226:227], v[128:129]
	;; [unrolled: 4-line block ×3, first 2 shown]
	v_fma_f64 v[86:87], v[192:193], v[134:135], -v[46:47]
	v_add_f64 v[46:47], v[8:9], v[138:139]
	v_fma_f64 v[8:9], v[48:49], -0.5, v[8:9]
	v_add_f64 v[46:47], v[46:47], v[146:147]
	v_fma_f64 v[48:49], v[54:55], s[6:7], v[8:9]
	v_fma_f64 v[8:9], v[54:55], s[16:17], v[8:9]
	v_add_f64 v[46:47], v[46:47], v[92:93]
	v_fma_f64 v[48:49], v[50:51], s[18:19], v[48:49]
	v_fma_f64 v[8:9], v[50:51], s[8:9], v[8:9]
	v_add_f64 v[92:93], v[6:7], -v[106:107]
	v_add_f64 v[46:47], v[46:47], v[96:97]
	v_fma_f64 v[60:61], v[56:57], s[14:15], v[48:49]
	v_fma_f64 v[50:51], v[56:57], s[14:15], v[8:9]
	v_add_f64 v[8:9], v[10:11], v[140:141]
	v_add_f64 v[48:49], v[138:139], -v[96:97]
	v_add_f64 v[66:67], v[66:67], v[92:93]
	v_add_f64 v[8:9], v[8:9], v[148:149]
	v_add_f64 v[8:9], v[8:9], v[94:95]
	v_add_f64 v[54:55], v[8:9], v[0:1]
	v_add_f64 v[8:9], v[148:149], v[94:95]
	v_fma_f64 v[8:9], v[8:9], -0.5, v[10:11]
	v_fma_f64 v[56:57], v[48:49], s[6:7], v[8:9]
	v_fma_f64 v[8:9], v[48:49], s[16:17], v[8:9]
	v_fma_f64 v[56:57], v[62:63], s[8:9], v[56:57]
	v_fma_f64 v[8:9], v[62:63], s[18:19], v[8:9]
	v_fma_f64 v[96:97], v[64:65], s[14:15], v[56:57]
	v_add_f64 v[56:57], v[140:141], v[0:1]
	v_fma_f64 v[8:9], v[64:65], s[14:15], v[8:9]
	v_add_f64 v[64:65], v[148:149], -v[140:141]
	v_add_f64 v[0:1], v[94:95], -v[0:1]
	;; [unrolled: 1-line block ×3, first 2 shown]
	v_fma_f64 v[10:11], v[56:57], -0.5, v[10:11]
	v_add_f64 v[0:1], v[64:65], v[0:1]
	v_add_f64 v[64:65], v[154:155], -v[4:5]
	v_add_f64 v[94:95], v[94:95], v[116:117]
	v_fma_f64 v[56:57], v[62:63], s[16:17], v[10:11]
	v_fma_f64 v[10:11], v[62:63], s[6:7], v[10:11]
	;; [unrolled: 1-line block ×4, first 2 shown]
	v_add_f64 v[48:49], v[150:151], v[106:107]
	v_fma_f64 v[114:115], v[0:1], s[14:15], v[56:57]
	v_add_f64 v[56:57], v[144:145], -v[44:45]
	v_fma_f64 v[48:49], v[48:49], -0.5, v[121:122]
	v_fma_f64 v[10:11], v[0:1], s[14:15], v[10:11]
	v_add_f64 v[0:1], v[121:122], v[142:143]
	v_fma_f64 v[62:63], v[56:57], s[16:17], v[48:49]
	v_fma_f64 v[48:49], v[56:57], s[6:7], v[48:49]
	v_add_f64 v[0:1], v[0:1], v[150:151]
	v_fma_f64 v[62:63], v[64:65], s[18:19], v[62:63]
	;; [unrolled: 3-line block ×3, first 2 shown]
	v_fma_f64 v[48:49], v[66:67], s[14:15], v[48:49]
	v_add_f64 v[66:67], v[142:143], v[6:7]
	v_add_f64 v[0:1], v[0:1], v[6:7]
	v_add_f64 v[6:7], v[142:143], -v[6:7]
	v_fma_f64 v[66:67], v[66:67], -0.5, v[121:122]
	v_add_f64 v[121:122], v[154:155], -v[144:145]
	v_fma_f64 v[92:93], v[64:65], s[6:7], v[66:67]
	v_fma_f64 v[64:65], v[64:65], s[16:17], v[66:67]
	;; [unrolled: 1-line block ×4, first 2 shown]
	v_add_f64 v[64:65], v[136:137], v[144:145]
	v_fma_f64 v[116:117], v[94:95], s[14:15], v[92:93]
	v_fma_f64 v[56:57], v[94:95], s[14:15], v[56:57]
	v_add_f64 v[64:65], v[64:65], v[154:155]
	v_add_f64 v[92:93], v[150:151], -v[106:107]
	v_add_f64 v[94:95], v[144:145], -v[154:155]
	;; [unrolled: 1-line block ×3, first 2 shown]
	v_add_f64 v[64:65], v[64:65], v[4:5]
	v_add_f64 v[94:95], v[94:95], v[106:107]
	;; [unrolled: 1-line block ×4, first 2 shown]
	v_add_f64 v[4:5], v[4:5], -v[44:45]
	v_fma_f64 v[64:65], v[64:65], -0.5, v[136:137]
	v_add_f64 v[4:5], v[121:122], v[4:5]
	v_fma_f64 v[66:67], v[6:7], s[6:7], v[64:65]
	v_fma_f64 v[64:65], v[6:7], s[16:17], v[64:65]
	;; [unrolled: 1-line block ×6, first 2 shown]
	v_add_f64 v[64:65], v[144:145], v[44:45]
	v_fma_f64 v[64:65], v[64:65], -0.5, v[136:137]
	v_fma_f64 v[66:67], v[92:93], s[16:17], v[64:65]
	v_fma_f64 v[64:65], v[92:93], s[6:7], v[64:65]
	;; [unrolled: 1-line block ×4, first 2 shown]
	v_add_f64 v[64:65], v[46:47], v[0:1]
	v_fma_f64 v[44:45], v[4:5], s[14:15], v[66:67]
	v_fma_f64 v[4:5], v[4:5], s[14:15], v[6:7]
	v_mul_f64 v[6:7], v[106:107], s[18:19]
	v_mul_f64 v[106:107], v[106:107], s[20:21]
	;; [unrolled: 1-line block ×4, first 2 shown]
	v_fma_f64 v[6:7], v[62:63], s[20:21], v[6:7]
	v_fma_f64 v[62:63], v[62:63], s[8:9], v[106:107]
	v_fma_f64 v[121:122], v[116:117], s[14:15], v[66:67]
	v_mul_f64 v[66:67], v[4:5], s[16:17]
	v_mul_f64 v[4:5], v[4:5], s[22:23]
	v_fma_f64 v[106:107], v[116:117], s[6:7], v[44:45]
	v_mul_f64 v[44:45], v[94:95], s[24:25]
	v_add_f64 v[252:253], v[52:53], v[6:7]
	v_add_f64 v[254:255], v[96:97], v[62:63]
	;; [unrolled: 1-line block ×3, first 2 shown]
	v_fma_f64 v[124:125], v[56:57], s[22:23], v[66:67]
	v_mul_f64 v[66:67], v[94:95], s[18:19]
	v_fma_f64 v[4:5], v[56:57], s[6:7], v[4:5]
	v_fma_f64 v[116:117], v[48:49], s[8:9], v[44:45]
	v_add_f64 v[250:251], v[114:115], v[106:107]
	v_add_f64 v[44:45], v[46:47], -v[0:1]
	v_add_f64 v[46:47], v[54:55], -v[118:119]
	v_add_f64 v[0:1], v[108:109], v[36:37]
	v_add_f64 v[244:245], v[50:51], v[124:125]
	v_fma_f64 v[126:127], v[48:49], s[24:25], v[66:67]
	v_add_f64 v[246:247], v[10:11], v[4:5]
	v_add_f64 v[48:49], v[52:53], -v[6:7]
	v_add_f64 v[52:53], v[60:61], -v[121:122]
	;; [unrolled: 1-line block ×3, first 2 shown]
	v_add_f64 v[66:67], v[54:55], v[118:119]
	v_add_f64 v[94:95], v[8:9], v[116:117]
	v_add_f64 v[56:57], v[50:51], -v[124:125]
	v_add_f64 v[92:93], v[58:59], v[126:127]
	v_add_f64 v[60:61], v[58:59], -v[126:127]
	v_add_f64 v[58:59], v[10:11], -v[4:5]
	v_add_f64 v[4:5], v[38:39], v[42:43]
	v_add_f64 v[50:51], v[96:97], -v[62:63]
	v_add_f64 v[54:55], v[114:115], -v[106:107]
	;; [unrolled: 1-line block ×7, first 2 shown]
	v_fma_f64 v[4:5], v[4:5], -0.5, v[108:109]
	v_add_f64 v[0:1], v[0:1], v[38:39]
	v_add_f64 v[96:97], v[96:97], v[106:107]
	v_fma_f64 v[8:9], v[6:7], s[16:17], v[4:5]
	v_fma_f64 v[4:5], v[6:7], s[6:7], v[4:5]
	v_add_f64 v[0:1], v[0:1], v[42:43]
	v_fma_f64 v[8:9], v[10:11], s[18:19], v[8:9]
	v_fma_f64 v[4:5], v[10:11], s[8:9], v[4:5]
	v_add_f64 v[0:1], v[0:1], v[68:69]
	v_fma_f64 v[106:107], v[96:97], s[14:15], v[8:9]
	v_add_f64 v[8:9], v[36:37], v[68:69]
	v_fma_f64 v[4:5], v[96:97], s[14:15], v[4:5]
	v_fma_f64 v[8:9], v[8:9], -0.5, v[108:109]
	v_add_f64 v[108:109], v[38:39], -v[36:37]
	v_add_f64 v[38:39], v[38:39], -v[42:43]
	;; [unrolled: 1-line block ×3, first 2 shown]
	v_fma_f64 v[96:97], v[10:11], s[6:7], v[8:9]
	v_fma_f64 v[8:9], v[10:11], s[16:17], v[8:9]
	v_add_f64 v[108:109], v[108:109], v[114:115]
	v_add_f64 v[10:11], v[36:37], -v[68:69]
	v_add_f64 v[68:69], v[2:3], -v[40:41]
	;; [unrolled: 1-line block ×3, first 2 shown]
	v_fma_f64 v[96:97], v[6:7], s[18:19], v[96:97]
	v_fma_f64 v[6:7], v[6:7], s[8:9], v[8:9]
	v_add_f64 v[8:9], v[110:111], v[32:33]
	v_add_f64 v[42:43], v[42:43], v[68:69]
	v_fma_f64 v[96:97], v[108:109], s[14:15], v[96:97]
	v_fma_f64 v[6:7], v[108:109], s[14:15], v[6:7]
	v_add_f64 v[8:9], v[8:9], v[34:35]
	v_add_f64 v[8:9], v[8:9], v[40:41]
	;; [unrolled: 1-line block ×4, first 2 shown]
	v_fma_f64 v[8:9], v[8:9], -0.5, v[110:111]
	v_fma_f64 v[36:37], v[10:11], s[6:7], v[8:9]
	v_fma_f64 v[8:9], v[10:11], s[16:17], v[8:9]
	;; [unrolled: 1-line block ×6, first 2 shown]
	v_add_f64 v[8:9], v[32:33], v[2:3]
	v_add_f64 v[32:33], v[34:35], -v[32:33]
	v_add_f64 v[2:3], v[40:41], -v[2:3]
	;; [unrolled: 1-line block ×4, first 2 shown]
	v_fma_f64 v[8:9], v[8:9], -0.5, v[110:111]
	v_add_f64 v[2:3], v[32:33], v[2:3]
	v_fma_f64 v[36:37], v[38:39], s[16:17], v[8:9]
	v_fma_f64 v[8:9], v[38:39], s[6:7], v[8:9]
	v_fma_f64 v[36:37], v[10:11], s[8:9], v[36:37]
	v_fma_f64 v[8:9], v[10:11], s[18:19], v[8:9]
	v_add_f64 v[10:11], v[14:15], -v[28:29]
	v_fma_f64 v[110:111], v[2:3], s[14:15], v[36:37]
	v_fma_f64 v[38:39], v[2:3], s[14:15], v[8:9]
	v_add_f64 v[8:9], v[22:23], v[26:27]
	v_add_f64 v[36:37], v[18:19], -v[22:23]
	v_add_f64 v[2:3], v[20:21], v[18:19]
	v_fma_f64 v[8:9], v[8:9], -0.5, v[20:21]
	v_add_f64 v[36:37], v[36:37], v[40:41]
	v_add_f64 v[2:3], v[2:3], v[22:23]
	v_fma_f64 v[32:33], v[10:11], s[16:17], v[8:9]
	v_fma_f64 v[8:9], v[10:11], s[6:7], v[8:9]
	v_add_f64 v[2:3], v[2:3], v[26:27]
	v_fma_f64 v[32:33], v[34:35], s[18:19], v[32:33]
	v_fma_f64 v[8:9], v[34:35], s[8:9], v[8:9]
	;; [unrolled: 3-line block ×3, first 2 shown]
	v_add_f64 v[8:9], v[18:19], v[30:31]
	v_add_f64 v[32:33], v[22:23], -v[18:19]
	v_fma_f64 v[8:9], v[8:9], -0.5, v[20:21]
	v_add_f64 v[32:33], v[32:33], v[114:115]
	v_fma_f64 v[20:21], v[34:35], s[6:7], v[8:9]
	v_fma_f64 v[8:9], v[34:35], s[16:17], v[8:9]
	;; [unrolled: 1-line block ×4, first 2 shown]
	v_add_f64 v[10:11], v[18:19], -v[30:31]
	v_fma_f64 v[114:115], v[32:33], s[14:15], v[20:21]
	v_fma_f64 v[34:35], v[32:33], s[14:15], v[8:9]
	v_add_f64 v[8:9], v[12:13], v[14:15]
	v_add_f64 v[20:21], v[22:23], -v[26:27]
	v_add_f64 v[22:23], v[14:15], -v[16:17]
	;; [unrolled: 1-line block ×3, first 2 shown]
	v_add_f64 v[8:9], v[8:9], v[16:17]
	v_add_f64 v[22:23], v[22:23], v[26:27]
	;; [unrolled: 1-line block ×5, first 2 shown]
	v_fma_f64 v[8:9], v[8:9], -0.5, v[12:13]
	v_fma_f64 v[18:19], v[10:11], s[6:7], v[8:9]
	v_fma_f64 v[8:9], v[10:11], s[16:17], v[8:9]
	;; [unrolled: 1-line block ×6, first 2 shown]
	v_add_f64 v[8:9], v[14:15], v[28:29]
	v_add_f64 v[14:15], v[16:17], -v[14:15]
	v_add_f64 v[16:17], v[24:25], -v[28:29]
	v_fma_f64 v[8:9], v[8:9], -0.5, v[12:13]
	v_add_f64 v[14:15], v[14:15], v[16:17]
	v_fma_f64 v[12:13], v[20:21], s[16:17], v[8:9]
	v_fma_f64 v[8:9], v[20:21], s[6:7], v[8:9]
	;; [unrolled: 1-line block ×4, first 2 shown]
	v_mul_f64 v[10:11], v[18:19], s[18:19]
	v_fma_f64 v[16:17], v[14:15], s[14:15], v[12:13]
	v_fma_f64 v[26:27], v[14:15], s[14:15], v[8:9]
	;; [unrolled: 1-line block ×3, first 2 shown]
	v_mul_f64 v[14:15], v[18:19], s[20:21]
	v_add_f64 v[8:9], v[0:1], v[2:3]
	v_add_f64 v[0:1], v[0:1], -v[2:3]
	v_add_f64 v[2:3], v[108:109], -v[116:117]
	v_mul_f64 v[10:11], v[16:17], s[16:17]
	v_mul_f64 v[16:17], v[16:17], s[14:15]
	v_add_f64 v[12:13], v[106:107], v[28:29]
	v_fma_f64 v[18:19], v[40:41], s[8:9], v[14:15]
	v_fma_f64 v[118:119], v[114:115], s[14:15], v[10:11]
	v_mul_f64 v[10:11], v[26:27], s[16:17]
	v_fma_f64 v[114:115], v[114:115], s[6:7], v[16:17]
	v_mul_f64 v[16:17], v[26:27], s[22:23]
	v_add_f64 v[14:15], v[68:69], v[18:19]
	v_add_f64 v[18:19], v[68:69], -v[18:19]
	v_add_f64 v[68:69], v[228:229], -v[102:103]
	v_add_f64 v[20:21], v[96:97], v[118:119]
	v_fma_f64 v[121:122], v[34:35], s[22:23], v[10:11]
	v_mul_f64 v[10:11], v[30:31], s[18:19]
	v_fma_f64 v[126:127], v[34:35], s[6:7], v[16:17]
	v_mul_f64 v[16:17], v[30:31], s[24:25]
	v_add_f64 v[22:23], v[110:111], v[114:115]
	v_add_f64 v[30:31], v[110:111], -v[114:115]
	v_add_f64 v[110:111], v[112:113], -v[104:105]
	;; [unrolled: 1-line block ×3, first 2 shown]
	v_add_f64 v[24:25], v[6:7], v[121:122]
	v_fma_f64 v[124:125], v[36:37], s[24:25], v[10:11]
	v_add_f64 v[10:11], v[108:109], v[116:117]
	v_fma_f64 v[128:129], v[36:37], s[8:9], v[16:17]
	v_add_f64 v[36:37], v[6:7], -v[121:122]
	v_add_f64 v[6:7], v[100:101], v[104:105]
	v_add_f64 v[16:17], v[106:107], -v[28:29]
	v_add_f64 v[28:29], v[96:97], -v[118:119]
	;; [unrolled: 1-line block ×4, first 2 shown]
	v_add_f64 v[32:33], v[4:5], v[124:125]
	v_add_f64 v[40:41], v[4:5], -v[124:125]
	v_add_f64 v[4:5], v[156:157], v[70:71]
	v_fma_f64 v[6:7], v[6:7], -0.5, v[156:157]
	v_add_f64 v[116:117], v[104:105], -v[112:113]
	v_add_f64 v[118:119], v[78:79], -v[84:85]
	;; [unrolled: 1-line block ×3, first 2 shown]
	v_add_f64 v[108:109], v[108:109], v[110:111]
	v_add_f64 v[124:125], v[88:89], -v[90:91]
	v_add_f64 v[26:27], v[38:39], v[126:127]
	v_add_f64 v[4:5], v[4:5], v[100:101]
	v_fma_f64 v[96:97], v[68:69], s[16:17], v[6:7]
	v_fma_f64 v[6:7], v[68:69], s[6:7], v[6:7]
	v_add_f64 v[114:115], v[114:115], v[116:117]
	v_add_f64 v[100:101], v[100:101], -v[104:105]
	v_add_f64 v[116:117], v[230:231], -v[228:229]
	v_add_f64 v[118:119], v[118:119], v[121:122]
	v_add_f64 v[121:122], v[84:85], -v[78:79]
	v_add_f64 v[4:5], v[4:5], v[104:105]
	v_fma_f64 v[96:97], v[106:107], s[18:19], v[96:97]
	v_fma_f64 v[6:7], v[106:107], s[8:9], v[6:7]
	v_add_f64 v[34:35], v[42:43], v[128:129]
	v_add_f64 v[38:39], v[38:39], -v[126:127]
	v_add_f64 v[42:43], v[42:43], -v[128:129]
	v_add_f64 v[121:122], v[121:122], v[124:125]
	v_add_f64 v[4:5], v[4:5], v[112:113]
	v_fma_f64 v[96:97], v[108:109], s[14:15], v[96:97]
	v_fma_f64 v[6:7], v[108:109], s[14:15], v[6:7]
	v_add_f64 v[108:109], v[70:71], v[112:113]
	v_add_f64 v[70:71], v[70:71], -v[112:113]
	v_fma_f64 v[108:109], v[108:109], -0.5, v[156:157]
	v_fma_f64 v[110:111], v[106:107], s[6:7], v[108:109]
	v_fma_f64 v[106:107], v[106:107], s[16:17], v[108:109]
	v_add_f64 v[108:109], v[230:231], v[98:99]
	v_fma_f64 v[110:111], v[68:69], s[18:19], v[110:111]
	v_fma_f64 v[68:69], v[68:69], s[8:9], v[106:107]
	v_fma_f64 v[108:109], v[108:109], -0.5, v[158:159]
	v_add_f64 v[106:107], v[158:159], v[228:229]
	v_fma_f64 v[110:111], v[114:115], s[14:15], v[110:111]
	v_fma_f64 v[68:69], v[114:115], s[14:15], v[68:69]
	v_fma_f64 v[112:113], v[70:71], s[6:7], v[108:109]
	v_add_f64 v[114:115], v[102:103], -v[98:99]
	v_fma_f64 v[108:109], v[70:71], s[16:17], v[108:109]
	v_add_f64 v[106:107], v[106:107], v[230:231]
	v_fma_f64 v[104:105], v[100:101], s[8:9], v[112:113]
	v_add_f64 v[112:113], v[228:229], -v[230:231]
	v_fma_f64 v[108:109], v[100:101], s[18:19], v[108:109]
	v_add_f64 v[106:107], v[106:107], v[98:99]
	v_add_f64 v[98:99], v[98:99], -v[102:103]
	v_add_f64 v[112:113], v[112:113], v[114:115]
	v_add_f64 v[106:107], v[106:107], v[102:103]
	;; [unrolled: 1-line block ×3, first 2 shown]
	v_add_f64 v[116:117], v[76:77], -v[82:83]
	v_fma_f64 v[104:105], v[112:113], s[14:15], v[104:105]
	v_fma_f64 v[108:109], v[112:113], s[14:15], v[108:109]
	v_add_f64 v[112:113], v[228:229], v[102:103]
	v_fma_f64 v[112:113], v[112:113], -0.5, v[158:159]
	v_fma_f64 v[114:115], v[100:101], s[16:17], v[112:113]
	v_fma_f64 v[100:101], v[100:101], s[6:7], v[112:113]
	v_add_f64 v[112:113], v[74:75], -v[86:87]
	v_fma_f64 v[114:115], v[70:71], s[8:9], v[114:115]
	v_fma_f64 v[70:71], v[70:71], s[18:19], v[100:101]
	v_add_f64 v[100:101], v[84:85], v[88:89]
	v_fma_f64 v[102:103], v[98:99], s[14:15], v[114:115]
	v_fma_f64 v[70:71], v[98:99], s[14:15], v[70:71]
	v_fma_f64 v[100:101], v[100:101], -0.5, v[80:81]
	v_add_f64 v[98:99], v[80:81], v[78:79]
	v_fma_f64 v[114:115], v[112:113], s[16:17], v[100:101]
	v_fma_f64 v[100:101], v[112:113], s[6:7], v[100:101]
	v_add_f64 v[98:99], v[98:99], v[84:85]
	v_add_f64 v[84:85], v[84:85], -v[88:89]
	v_fma_f64 v[114:115], v[116:117], s[18:19], v[114:115]
	v_fma_f64 v[100:101], v[116:117], s[8:9], v[100:101]
	v_add_f64 v[98:99], v[98:99], v[88:89]
	v_fma_f64 v[114:115], v[118:119], s[14:15], v[114:115]
	v_fma_f64 v[100:101], v[118:119], s[14:15], v[100:101]
	v_add_f64 v[118:119], v[78:79], v[90:91]
	v_add_f64 v[78:79], v[78:79], -v[90:91]
	v_add_f64 v[98:99], v[98:99], v[90:91]
	v_fma_f64 v[80:81], v[118:119], -0.5, v[80:81]
	v_add_f64 v[232:233], v[4:5], v[98:99]
	v_add_f64 v[236:237], v[4:5], -v[98:99]
	v_fma_f64 v[118:119], v[116:117], s[6:7], v[80:81]
	v_fma_f64 v[80:81], v[116:117], s[16:17], v[80:81]
	v_add_f64 v[116:117], v[76:77], v[82:83]
	v_fma_f64 v[118:119], v[112:113], s[18:19], v[118:119]
	v_fma_f64 v[80:81], v[112:113], s[8:9], v[80:81]
	v_fma_f64 v[116:117], v[116:117], -0.5, v[72:73]
	v_add_f64 v[112:113], v[72:73], v[74:75]
	v_fma_f64 v[118:119], v[121:122], s[14:15], v[118:119]
	v_fma_f64 v[80:81], v[121:122], s[14:15], v[80:81]
	v_fma_f64 v[90:91], v[78:79], s[6:7], v[116:117]
	v_add_f64 v[121:122], v[86:87], -v[82:83]
	v_fma_f64 v[116:117], v[78:79], s[16:17], v[116:117]
	v_add_f64 v[112:113], v[112:113], v[76:77]
	v_fma_f64 v[88:89], v[84:85], s[8:9], v[90:91]
	v_add_f64 v[90:91], v[74:75], -v[76:77]
	v_fma_f64 v[116:117], v[84:85], s[18:19], v[116:117]
	v_add_f64 v[112:113], v[112:113], v[82:83]
	v_add_f64 v[90:91], v[90:91], v[121:122]
	;; [unrolled: 1-line block ×3, first 2 shown]
	v_fma_f64 v[88:89], v[90:91], s[14:15], v[88:89]
	v_fma_f64 v[90:91], v[90:91], s[14:15], v[116:117]
	v_add_f64 v[116:117], v[74:75], v[86:87]
	v_add_f64 v[74:75], v[76:77], -v[74:75]
	v_add_f64 v[76:77], v[82:83], -v[86:87]
	v_add_f64 v[234:235], v[106:107], v[112:113]
	v_add_f64 v[238:239], v[106:107], -v[112:113]
	v_mul_f64 v[86:87], v[88:89], s[20:21]
	v_fma_f64 v[72:73], v[116:117], -0.5, v[72:73]
	v_add_f64 v[74:75], v[74:75], v[76:77]
	v_fma_f64 v[86:87], v[114:115], s[8:9], v[86:87]
	v_fma_f64 v[116:117], v[84:85], s[16:17], v[72:73]
	;; [unrolled: 1-line block ×3, first 2 shown]
	v_mul_f64 v[84:85], v[90:91], s[18:19]
	v_add_f64 v[230:231], v[104:105], v[86:87]
	v_add_f64 v[226:227], v[104:105], -v[86:87]
	v_fma_f64 v[116:117], v[78:79], s[8:9], v[116:117]
	v_fma_f64 v[72:73], v[78:79], s[18:19], v[72:73]
	;; [unrolled: 1-line block ×5, first 2 shown]
	v_mul_f64 v[74:75], v[88:89], s[18:19]
	v_add_f64 v[192:193], v[6:7], v[84:85]
	v_mul_f64 v[78:79], v[76:77], s[16:17]
	v_mul_f64 v[82:83], v[72:73], s[16:17]
	;; [unrolled: 1-line block ×4, first 2 shown]
	v_fma_f64 v[74:75], v[114:115], s[20:21], v[74:75]
	v_fma_f64 v[78:79], v[118:119], s[14:15], v[78:79]
	;; [unrolled: 1-line block ×4, first 2 shown]
	v_mul_f64 v[72:73], v[90:91], s[24:25]
	v_fma_f64 v[76:77], v[118:119], s[6:7], v[76:77]
	v_add_f64 v[228:229], v[96:97], v[74:75]
	v_add_f64 v[224:225], v[96:97], -v[74:75]
	s_mul_hi_u32 s6, s0, 0xffff7fc0
	v_add_f64 v[216:217], v[110:111], v[78:79]
	v_add_f64 v[4:5], v[68:69], -v[82:83]
	v_add_f64 v[208:209], v[68:69], v[82:83]
	v_fma_f64 v[88:89], v[100:101], s[8:9], v[72:73]
	v_add_f64 v[72:73], v[6:7], -v[84:85]
	v_add_f64 v[6:7], v[70:71], -v[80:81]
	v_add_f64 v[218:219], v[102:103], v[76:77]
	v_add_f64 v[210:211], v[70:71], v[80:81]
	v_add_f64 v[200:201], v[110:111], -v[78:79]
	v_add_f64 v[202:203], v[102:103], -v[76:77]
	s_sub_i32 s6, s6, s0
	v_add_f64 v[74:75], v[108:109], -v[88:89]
	v_add_f64 v[194:195], v[108:109], v[88:89]
	ds_write_b128 v152, v[64:67]
	ds_write_b128 v152, v[252:255] offset:144
	ds_write_b128 v152, v[248:251] offset:288
	ds_write_b128 v152, v[244:247] offset:432
	ds_write_b128 v152, v[92:95] offset:576
	ds_write_b128 v152, v[44:47] offset:720
	ds_write_b128 v152, v[48:51] offset:864
	ds_write_b128 v152, v[52:55] offset:1008
	ds_write_b128 v152, v[56:59] offset:1152
	ds_write_b128 v152, v[60:63] offset:1296
	ds_write_b128 v153, v[8:11]
	ds_write_b128 v153, v[12:15] offset:144
	ds_write_b128 v153, v[20:23] offset:288
	ds_write_b128 v153, v[24:27] offset:432
	ds_write_b128 v153, v[32:35] offset:576
	ds_write_b128 v153, v[0:3] offset:720
	ds_write_b128 v153, v[16:19] offset:864
	ds_write_b128 v153, v[28:31] offset:1008
	ds_write_b128 v153, v[36:39] offset:1152
	ds_write_b128 v153, v[40:43] offset:1296
	ds_write_b128 v162, v[232:235]
	ds_write_b128 v162, v[228:231] offset:144
	ds_write_b128 v162, v[216:219] offset:288
	ds_write_b128 v162, v[208:211] offset:432
	ds_write_b128 v162, v[192:195] offset:576
	ds_write_b128 v162, v[236:239] offset:720
	ds_write_b128 v162, v[224:227] offset:864
	ds_write_b128 v162, v[200:203] offset:1008
	ds_write_b128 v162, v[4:7] offset:1152
	ds_write_b128 v162, v[72:75] offset:1296
	s_waitcnt lgkmcnt(0)
	s_barrier
	ds_read_b128 v[16:19], v120
	ds_read_b128 v[20:23], v120 offset:8640
	ds_read_b128 v[24:27], v120 offset:17280
	;; [unrolled: 1-line block ×29, first 2 shown]
	buffer_load_dword v124, off, s[36:39], 0 offset:1144 ; 4-byte Folded Reload
	buffer_load_dword v125, off, s[36:39], 0 offset:1148 ; 4-byte Folded Reload
	;; [unrolled: 1-line block ×4, first 2 shown]
	s_waitcnt vmcnt(0) lgkmcnt(14)
	v_mul_f64 v[121:122], v[126:127], v[22:23]
	v_fma_f64 v[121:122], v[124:125], v[20:21], v[121:122]
	v_mul_f64 v[20:21], v[126:127], v[20:21]
	v_fma_f64 v[20:21], v[124:125], v[22:23], -v[20:21]
	buffer_load_dword v124, off, s[36:39], 0 offset:1160 ; 4-byte Folded Reload
	buffer_load_dword v125, off, s[36:39], 0 offset:1164 ; 4-byte Folded Reload
	buffer_load_dword v126, off, s[36:39], 0 offset:1168 ; 4-byte Folded Reload
	buffer_load_dword v127, off, s[36:39], 0 offset:1172 ; 4-byte Folded Reload
	s_waitcnt vmcnt(0)
	v_mul_f64 v[22:23], v[126:127], v[26:27]
	v_fma_f64 v[22:23], v[124:125], v[24:25], v[22:23]
	v_mul_f64 v[24:25], v[126:127], v[24:25]
	v_fma_f64 v[24:25], v[124:125], v[26:27], -v[24:25]
	buffer_load_dword v124, off, s[36:39], 0 offset:1176 ; 4-byte Folded Reload
	buffer_load_dword v125, off, s[36:39], 0 offset:1180 ; 4-byte Folded Reload
	buffer_load_dword v126, off, s[36:39], 0 offset:1184 ; 4-byte Folded Reload
	buffer_load_dword v127, off, s[36:39], 0 offset:1188 ; 4-byte Folded Reload
	s_waitcnt vmcnt(0)
	;; [unrolled: 9-line block ×12, first 2 shown]
	v_mul_f64 v[66:67], v[126:127], v[70:71]
	v_fma_f64 v[66:67], v[124:125], v[68:69], v[66:67]
	v_mul_f64 v[68:69], v[126:127], v[68:69]
	v_fma_f64 v[68:69], v[124:125], v[70:71], -v[68:69]
	buffer_load_dword v124, off, s[36:39], 0 offset:1372 ; 4-byte Folded Reload
	buffer_load_dword v125, off, s[36:39], 0 offset:1376 ; 4-byte Folded Reload
	;; [unrolled: 1-line block ×8, first 2 shown]
	s_waitcnt vmcnt(4) lgkmcnt(13)
	v_mul_f64 v[70:71], v[126:127], v[74:75]
	v_fma_f64 v[70:71], v[124:125], v[72:73], v[70:71]
	v_mul_f64 v[72:73], v[126:127], v[72:73]
	v_fma_f64 v[124:125], v[124:125], v[74:75], -v[72:73]
	s_waitcnt vmcnt(0) lgkmcnt(12)
	v_mul_f64 v[72:73], v[130:131], v[78:79]
	v_fma_f64 v[126:127], v[128:129], v[76:77], v[72:73]
	v_mul_f64 v[72:73], v[130:131], v[76:77]
	buffer_load_dword v74, off, s[36:39], 0 offset:1532 ; 4-byte Folded Reload
	buffer_load_dword v75, off, s[36:39], 0 offset:1536 ; 4-byte Folded Reload
	;; [unrolled: 1-line block ×4, first 2 shown]
	v_fma_f64 v[128:129], v[128:129], v[78:79], -v[72:73]
	s_waitcnt vmcnt(0) lgkmcnt(10)
	v_mul_f64 v[72:73], v[76:77], v[82:83]
	v_fma_f64 v[130:131], v[74:75], v[80:81], v[72:73]
	v_mul_f64 v[72:73], v[76:77], v[80:81]
	v_fma_f64 v[80:81], v[74:75], v[82:83], -v[72:73]
	buffer_load_dword v74, off, s[36:39], 0 offset:1548 ; 4-byte Folded Reload
	buffer_load_dword v75, off, s[36:39], 0 offset:1552 ; 4-byte Folded Reload
	buffer_load_dword v76, off, s[36:39], 0 offset:1556 ; 4-byte Folded Reload
	buffer_load_dword v77, off, s[36:39], 0 offset:1560 ; 4-byte Folded Reload
	s_waitcnt vmcnt(0) lgkmcnt(9)
	v_mul_f64 v[72:73], v[76:77], v[86:87]
	v_fma_f64 v[82:83], v[74:75], v[84:85], v[72:73]
	v_mul_f64 v[72:73], v[76:77], v[84:85]
	v_fma_f64 v[84:85], v[74:75], v[86:87], -v[72:73]
	buffer_load_dword v74, off, s[36:39], 0 offset:1580 ; 4-byte Folded Reload
	buffer_load_dword v75, off, s[36:39], 0 offset:1584 ; 4-byte Folded Reload
	buffer_load_dword v76, off, s[36:39], 0 offset:1588 ; 4-byte Folded Reload
	buffer_load_dword v77, off, s[36:39], 0 offset:1592 ; 4-byte Folded Reload
	;; [unrolled: 9-line block ×5, first 2 shown]
	s_waitcnt lgkmcnt(4)
	v_mul_f64 v[72:73], v[174:175], v[102:103]
	s_waitcnt vmcnt(0) lgkmcnt(0)
	s_barrier
	v_fma_f64 v[98:99], v[172:173], v[100:101], v[72:73]
	v_mul_f64 v[72:73], v[174:175], v[100:101]
	v_fma_f64 v[100:101], v[172:173], v[102:103], -v[72:73]
	v_mul_f64 v[72:73], v[182:183], v[106:107]
	v_fma_f64 v[102:103], v[180:181], v[104:105], v[72:73]
	v_mul_f64 v[72:73], v[182:183], v[104:105]
	v_fma_f64 v[132:133], v[180:181], v[106:107], -v[72:73]
	v_mul_f64 v[72:73], v[198:199], v[110:111]
	v_fma_f64 v[134:135], v[196:197], v[108:109], v[72:73]
	v_mul_f64 v[72:73], v[198:199], v[108:109]
	v_fma_f64 v[108:109], v[196:197], v[110:111], -v[72:73]
	v_mul_f64 v[72:73], v[76:77], v[114:115]
	v_fma_f64 v[110:111], v[74:75], v[112:113], v[72:73]
	v_mul_f64 v[72:73], v[76:77], v[112:113]
	v_fma_f64 v[112:113], v[74:75], v[114:115], -v[72:73]
	v_mul_f64 v[72:73], v[166:167], v[118:119]
	v_fma_f64 v[114:115], v[164:165], v[116:117], v[72:73]
	v_mul_f64 v[72:73], v[166:167], v[116:117]
	v_fma_f64 v[116:117], v[164:165], v[118:119], -v[72:73]
	v_add_f64 v[72:73], v[16:17], v[22:23]
	v_add_f64 v[118:119], v[72:73], v[30:31]
	v_add_f64 v[72:73], v[22:23], v[30:31]
	v_add_f64 v[22:23], v[22:23], -v[30:31]
	v_add_f64 v[30:31], v[26:27], v[34:35]
	v_fma_f64 v[16:17], v[72:73], -0.5, v[16:17]
	v_add_f64 v[72:73], v[24:25], -v[32:33]
	v_fma_f64 v[30:31], v[30:31], -0.5, v[121:122]
	v_fma_f64 v[136:137], v[72:73], s[4:5], v[16:17]
	v_fma_f64 v[16:17], v[72:73], s[2:3], v[16:17]
	v_add_f64 v[72:73], v[18:19], v[24:25]
	v_add_f64 v[24:25], v[24:25], v[32:33]
	;; [unrolled: 1-line block ×3, first 2 shown]
	v_add_f64 v[32:33], v[28:29], -v[36:37]
	v_fma_f64 v[18:19], v[24:25], -0.5, v[18:19]
	v_fma_f64 v[74:75], v[32:33], s[4:5], v[30:31]
	v_fma_f64 v[30:31], v[32:33], s[2:3], v[30:31]
	v_add_f64 v[32:33], v[20:21], v[28:29]
	v_add_f64 v[28:29], v[28:29], v[36:37]
	v_fma_f64 v[24:25], v[22:23], s[2:3], v[18:19]
	v_fma_f64 v[18:19], v[22:23], s[4:5], v[18:19]
	v_add_f64 v[22:23], v[121:122], v[26:27]
	v_add_f64 v[26:27], v[26:27], -v[34:35]
	v_add_f64 v[32:33], v[32:33], v[36:37]
	v_fma_f64 v[20:21], v[28:29], -0.5, v[20:21]
	v_add_f64 v[22:23], v[22:23], v[34:35]
	v_add_f64 v[78:79], v[138:139], v[32:33]
	v_fma_f64 v[28:29], v[26:27], s[2:3], v[20:21]
	v_fma_f64 v[20:21], v[26:27], s[4:5], v[20:21]
	v_add_f64 v[198:199], v[138:139], -v[32:33]
	v_add_f64 v[32:33], v[48:49], v[56:57]
	v_add_f64 v[76:77], v[118:119], v[22:23]
	v_add_f64 v[196:197], v[118:119], -v[22:23]
	v_add_f64 v[22:23], v[44:45], v[52:53]
	v_mul_f64 v[26:27], v[28:29], s[4:5]
	v_mul_f64 v[34:35], v[20:21], s[4:5]
	v_mul_f64 v[20:21], v[20:21], -0.5
	v_mul_f64 v[28:29], v[28:29], 0.5
	v_fma_f64 v[32:33], v[32:33], -0.5, v[40:41]
	v_fma_f64 v[26:27], v[74:75], 0.5, v[26:27]
	v_fma_f64 v[34:35], v[30:31], -0.5, v[34:35]
	v_fma_f64 v[20:21], v[30:31], s[2:3], v[20:21]
	v_fma_f64 v[28:29], v[74:75], s[2:3], v[28:29]
	v_add_f64 v[104:105], v[136:137], v[26:27]
	v_add_f64 v[72:73], v[16:17], v[34:35]
	;; [unrolled: 1-line block ×3, first 2 shown]
	v_add_f64 v[150:151], v[18:19], -v[20:21]
	v_add_f64 v[18:19], v[42:43], v[50:51]
	v_add_f64 v[180:181], v[136:137], -v[26:27]
	v_add_f64 v[148:149], v[16:17], -v[34:35]
	v_add_f64 v[16:17], v[12:13], v[42:43]
	v_add_f64 v[26:27], v[46:47], v[54:55]
	v_add_f64 v[34:35], v[46:47], -v[54:55]
	v_add_f64 v[106:107], v[24:25], v[28:29]
	v_add_f64 v[182:183], v[24:25], -v[28:29]
	v_fma_f64 v[12:13], v[18:19], -0.5, v[12:13]
	v_add_f64 v[18:19], v[44:45], -v[52:53]
	v_add_f64 v[28:29], v[48:49], -v[56:57]
	v_add_f64 v[16:17], v[16:17], v[50:51]
	v_fma_f64 v[26:27], v[26:27], -0.5, v[38:39]
	v_fma_f64 v[36:37], v[34:35], s[2:3], v[32:33]
	v_fma_f64 v[32:33], v[34:35], s[4:5], v[32:33]
	;; [unrolled: 1-line block ×4, first 2 shown]
	v_add_f64 v[18:19], v[14:15], v[44:45]
	v_fma_f64 v[14:15], v[22:23], -0.5, v[14:15]
	v_add_f64 v[22:23], v[42:43], -v[50:51]
	v_fma_f64 v[30:31], v[28:29], s[4:5], v[26:27]
	v_fma_f64 v[26:27], v[28:29], s[2:3], v[26:27]
	v_add_f64 v[28:29], v[40:41], v[48:49]
	v_mul_f64 v[34:35], v[36:37], s[4:5]
	v_mul_f64 v[36:37], v[36:37], 0.5
	v_add_f64 v[18:19], v[18:19], v[52:53]
	v_fma_f64 v[24:25], v[22:23], s[2:3], v[14:15]
	v_fma_f64 v[14:15], v[22:23], s[4:5], v[14:15]
	v_add_f64 v[22:23], v[38:39], v[46:47]
	v_mul_f64 v[38:39], v[32:33], s[4:5]
	v_mul_f64 v[32:33], v[32:33], -0.5
	v_add_f64 v[28:29], v[28:29], v[56:57]
	v_fma_f64 v[34:35], v[30:31], 0.5, v[34:35]
	v_fma_f64 v[30:31], v[30:31], s[2:3], v[36:37]
	v_add_f64 v[22:23], v[22:23], v[54:55]
	v_fma_f64 v[38:39], v[26:27], -0.5, v[38:39]
	v_fma_f64 v[26:27], v[26:27], s[2:3], v[32:33]
	v_add_f64 v[194:195], v[18:19], v[28:29]
	v_add_f64 v[164:165], v[20:21], v[34:35]
	;; [unrolled: 1-line block ×3, first 2 shown]
	v_add_f64 v[140:141], v[20:21], -v[34:35]
	v_add_f64 v[174:175], v[18:19], -v[28:29]
	v_add_f64 v[192:193], v[16:17], v[22:23]
	v_add_f64 v[152:153], v[12:13], v[38:39]
	;; [unrolled: 1-line block ×3, first 2 shown]
	v_add_f64 v[172:173], v[16:17], -v[22:23]
	v_add_f64 v[136:137], v[12:13], -v[38:39]
	;; [unrolled: 1-line block ×4, first 2 shown]
	ds_write_b128 v123, v[76:79]
	ds_write_b128 v123, v[104:107] offset:1440
	ds_write_b128 v123, v[72:75] offset:2880
	;; [unrolled: 1-line block ×5, first 2 shown]
	ds_write_b128 v161, v[192:195]
	ds_write_b128 v161, v[164:167] offset:1440
	ds_write_b128 v161, v[152:155] offset:2880
	;; [unrolled: 1-line block ×5, first 2 shown]
	buffer_load_dword v72, off, s[36:39], 0 offset:1744 ; 4-byte Folded Reload
	v_add_f64 v[14:15], v[62:63], v[70:71]
	v_add_f64 v[28:29], v[68:69], v[128:129]
	;; [unrolled: 1-line block ×5, first 2 shown]
	v_add_f64 v[30:31], v[66:67], -v[126:127]
	v_add_f64 v[24:25], v[68:69], -v[128:129]
	v_fma_f64 v[8:9], v[14:15], -0.5, v[8:9]
	v_add_f64 v[14:15], v[64:65], -v[124:125]
	v_fma_f64 v[28:29], v[28:29], -0.5, v[60:61]
	v_add_f64 v[12:13], v[12:13], v[70:71]
	v_fma_f64 v[22:23], v[22:23], -0.5, v[58:59]
	v_fma_f64 v[16:17], v[14:15], s[4:5], v[8:9]
	v_fma_f64 v[8:9], v[14:15], s[2:3], v[8:9]
	v_add_f64 v[14:15], v[10:11], v[64:65]
	v_fma_f64 v[10:11], v[18:19], -0.5, v[10:11]
	v_add_f64 v[18:19], v[62:63], -v[70:71]
	v_fma_f64 v[32:33], v[30:31], s[2:3], v[28:29]
	v_fma_f64 v[28:29], v[30:31], s[4:5], v[28:29]
	;; [unrolled: 1-line block ×4, first 2 shown]
	v_add_f64 v[24:25], v[60:61], v[68:69]
	v_add_f64 v[14:15], v[14:15], v[124:125]
	v_fma_f64 v[20:21], v[18:19], s[2:3], v[10:11]
	v_fma_f64 v[10:11], v[18:19], s[4:5], v[10:11]
	v_add_f64 v[18:19], v[58:59], v[66:67]
	v_mul_f64 v[30:31], v[32:33], s[4:5]
	v_mul_f64 v[32:33], v[32:33], 0.5
	v_mul_f64 v[34:35], v[28:29], s[4:5]
	v_mul_f64 v[28:29], v[28:29], -0.5
	v_add_f64 v[24:25], v[24:25], v[128:129]
	v_add_f64 v[18:19], v[18:19], v[126:127]
	v_fma_f64 v[30:31], v[26:27], 0.5, v[30:31]
	v_fma_f64 v[26:27], v[26:27], s[2:3], v[32:33]
	v_fma_f64 v[34:35], v[22:23], -0.5, v[34:35]
	v_fma_f64 v[22:23], v[22:23], s[2:3], v[28:29]
	v_add_f64 v[70:71], v[14:15], v[24:25]
	v_add_f64 v[66:67], v[14:15], -v[24:25]
	v_add_f64 v[24:25], v[88:89], v[96:97]
	v_add_f64 v[68:69], v[12:13], v[18:19]
	;; [unrolled: 1-line block ×6, first 2 shown]
	v_add_f64 v[64:65], v[12:13], -v[18:19]
	v_add_f64 v[52:53], v[16:17], -v[30:31]
	;; [unrolled: 1-line block ×5, first 2 shown]
	s_waitcnt vmcnt(0)
	ds_write_b128 v72, v[68:71]
	ds_write_b128 v72, v[60:63] offset:1440
	ds_write_b128 v72, v[56:59] offset:2880
	;; [unrolled: 1-line block ×5, first 2 shown]
	buffer_load_dword v48, off, s[36:39], 0 offset:1596 ; 4-byte Folded Reload
	v_add_f64 v[10:11], v[82:83], v[90:91]
	v_add_f64 v[18:19], v[86:87], v[94:95]
	v_fma_f64 v[24:25], v[24:25], -0.5, v[80:81]
	v_add_f64 v[26:27], v[86:87], -v[94:95]
	v_add_f64 v[8:9], v[4:5], v[82:83]
	v_add_f64 v[14:15], v[84:85], v[92:93]
	v_add_f64 v[20:21], v[88:89], -v[96:97]
	v_fma_f64 v[4:5], v[10:11], -0.5, v[4:5]
	v_add_f64 v[10:11], v[84:85], -v[92:93]
	v_fma_f64 v[18:19], v[18:19], -0.5, v[130:131]
	v_fma_f64 v[28:29], v[26:27], s[2:3], v[24:25]
	v_fma_f64 v[24:25], v[26:27], s[4:5], v[24:25]
	v_add_f64 v[8:9], v[8:9], v[90:91]
	v_fma_f64 v[12:13], v[10:11], s[4:5], v[4:5]
	v_fma_f64 v[4:5], v[10:11], s[2:3], v[4:5]
	v_add_f64 v[10:11], v[6:7], v[84:85]
	v_fma_f64 v[6:7], v[14:15], -0.5, v[6:7]
	v_add_f64 v[14:15], v[82:83], -v[90:91]
	v_fma_f64 v[22:23], v[20:21], s[4:5], v[18:19]
	v_fma_f64 v[18:19], v[20:21], s[2:3], v[18:19]
	v_mul_f64 v[26:27], v[28:29], s[4:5]
	v_mul_f64 v[30:31], v[24:25], s[4:5]
	v_mul_f64 v[24:25], v[24:25], -0.5
	v_mul_f64 v[28:29], v[28:29], 0.5
	v_add_f64 v[20:21], v[80:81], v[88:89]
	v_fma_f64 v[16:17], v[14:15], s[2:3], v[6:7]
	v_fma_f64 v[6:7], v[14:15], s[4:5], v[6:7]
	v_add_f64 v[14:15], v[130:131], v[86:87]
	v_fma_f64 v[26:27], v[22:23], 0.5, v[26:27]
	v_fma_f64 v[30:31], v[18:19], -0.5, v[30:31]
	v_fma_f64 v[18:19], v[18:19], s[2:3], v[24:25]
	v_fma_f64 v[22:23], v[22:23], s[2:3], v[28:29]
	v_add_f64 v[10:11], v[10:11], v[92:93]
	v_add_f64 v[20:21], v[20:21], v[96:97]
	;; [unrolled: 1-line block ×4, first 2 shown]
	v_add_f64 v[28:29], v[12:13], -v[26:27]
	v_add_f64 v[34:35], v[6:7], v[18:19]
	v_add_f64 v[26:27], v[6:7], -v[18:19]
	v_add_f64 v[6:7], v[102:103], v[110:111]
	v_add_f64 v[32:33], v[4:5], v[30:31]
	v_add_f64 v[24:25], v[4:5], -v[30:31]
	v_add_f64 v[44:45], v[8:9], v[14:15]
	v_add_f64 v[40:41], v[8:9], -v[14:15]
	v_add_f64 v[4:5], v[0:1], v[102:103]
	v_add_f64 v[8:9], v[132:133], v[112:113]
	;; [unrolled: 1-line block ×3, first 2 shown]
	v_fma_f64 v[0:1], v[6:7], -0.5, v[0:1]
	v_add_f64 v[6:7], v[132:133], -v[112:113]
	v_add_f64 v[38:39], v[16:17], v[22:23]
	v_add_f64 v[42:43], v[10:11], -v[20:21]
	v_add_f64 v[30:31], v[16:17], -v[22:23]
	s_waitcnt vmcnt(0)
	ds_write_b128 v48, v[44:47]
	ds_write_b128 v48, v[36:39] offset:1440
	ds_write_b128 v48, v[32:35] offset:2880
	;; [unrolled: 1-line block ×5, first 2 shown]
	v_fma_f64 v[18:19], v[6:7], s[4:5], v[0:1]
	v_fma_f64 v[0:1], v[6:7], s[2:3], v[0:1]
	v_add_f64 v[6:7], v[2:3], v[132:133]
	v_fma_f64 v[2:3], v[8:9], -0.5, v[2:3]
	v_add_f64 v[8:9], v[102:103], -v[110:111]
	buffer_load_dword v24, off, s[36:39], 0 offset:1304 ; 4-byte Folded Reload
	v_add_f64 v[10:11], v[108:109], -v[116:117]
	v_add_f64 v[12:13], v[134:135], -v[114:115]
	v_add_f64 v[4:5], v[4:5], v[110:111]
	v_add_f64 v[6:7], v[6:7], v[112:113]
	v_fma_f64 v[80:81], v[8:9], s[2:3], v[2:3]
	v_fma_f64 v[2:3], v[8:9], s[4:5], v[2:3]
	v_add_f64 v[8:9], v[98:99], v[134:135]
	v_add_f64 v[16:17], v[8:9], v[114:115]
	;; [unrolled: 1-line block ×4, first 2 shown]
	v_fma_f64 v[8:9], v[8:9], -0.5, v[98:99]
	v_add_f64 v[16:17], v[4:5], -v[16:17]
	v_fma_f64 v[14:15], v[10:11], s[4:5], v[8:9]
	v_fma_f64 v[10:11], v[10:11], s[2:3], v[8:9]
	v_add_f64 v[8:9], v[100:101], v[108:109]
	v_add_f64 v[82:83], v[8:9], v[116:117]
	;; [unrolled: 1-line block ×4, first 2 shown]
	v_fma_f64 v[8:9], v[8:9], -0.5, v[100:101]
	v_fma_f64 v[84:85], v[12:13], s[2:3], v[8:9]
	v_fma_f64 v[86:87], v[12:13], s[4:5], v[8:9]
	v_mul_f64 v[8:9], v[84:85], s[4:5]
	v_mul_f64 v[84:85], v[84:85], 0.5
	v_fma_f64 v[88:89], v[14:15], 0.5, v[8:9]
	v_mul_f64 v[8:9], v[86:87], s[4:5]
	v_mul_f64 v[86:87], v[86:87], -0.5
	v_fma_f64 v[84:85], v[14:15], s[2:3], v[84:85]
	v_add_f64 v[12:13], v[18:19], v[88:89]
	v_fma_f64 v[90:91], v[10:11], -0.5, v[8:9]
	v_fma_f64 v[86:87], v[10:11], s[2:3], v[86:87]
	v_add_f64 v[14:15], v[80:81], v[84:85]
	v_add_f64 v[4:5], v[18:19], -v[88:89]
	v_add_f64 v[18:19], v[6:7], -v[82:83]
	;; [unrolled: 1-line block ×3, first 2 shown]
	v_add_f64 v[8:9], v[0:1], v[90:91]
	v_add_f64 v[10:11], v[2:3], v[86:87]
	v_add_f64 v[0:1], v[0:1], -v[90:91]
	v_add_f64 v[2:3], v[2:3], -v[86:87]
	s_waitcnt vmcnt(0)
	ds_write_b128 v24, v[20:23]
	ds_write_b128 v24, v[12:15] offset:1440
	ds_write_b128 v24, v[8:11] offset:2880
	;; [unrolled: 1-line block ×5, first 2 shown]
	s_waitcnt lgkmcnt(0)
	s_barrier
	ds_read_b128 v[12:15], v120
	ds_read_b128 v[52:55], v120 offset:8640
	ds_read_b128 v[56:59], v120 offset:17280
	;; [unrolled: 1-line block ×29, first 2 shown]
	buffer_load_dword v123, off, s[36:39], 0 offset:1436 ; 4-byte Folded Reload
	buffer_load_dword v124, off, s[36:39], 0 offset:1440 ; 4-byte Folded Reload
	;; [unrolled: 1-line block ×8, first 2 shown]
	s_waitcnt vmcnt(4) lgkmcnt(14)
	v_mul_f64 v[121:122], v[125:126], v[54:55]
	v_fma_f64 v[121:122], v[123:124], v[52:53], v[121:122]
	v_mul_f64 v[52:53], v[125:126], v[52:53]
	v_fma_f64 v[123:124], v[123:124], v[54:55], -v[52:53]
	s_waitcnt vmcnt(0)
	v_mul_f64 v[52:53], v[129:130], v[58:59]
	v_fma_f64 v[125:126], v[127:128], v[56:57], v[52:53]
	v_mul_f64 v[52:53], v[129:130], v[56:57]
	v_fma_f64 v[56:57], v[127:128], v[58:59], -v[52:53]
	buffer_load_dword v127, off, s[36:39], 0 offset:1420 ; 4-byte Folded Reload
	buffer_load_dword v128, off, s[36:39], 0 offset:1424 ; 4-byte Folded Reload
	buffer_load_dword v129, off, s[36:39], 0 offset:1428 ; 4-byte Folded Reload
	buffer_load_dword v130, off, s[36:39], 0 offset:1432 ; 4-byte Folded Reload
	s_waitcnt vmcnt(0)
	v_mul_f64 v[52:53], v[129:130], v[62:63]
	v_fma_f64 v[58:59], v[127:128], v[60:61], v[52:53]
	v_mul_f64 v[52:53], v[129:130], v[60:61]
	v_fma_f64 v[127:128], v[127:128], v[62:63], -v[52:53]
	buffer_load_dword v60, off, s[36:39], 0 offset:1404 ; 4-byte Folded Reload
	buffer_load_dword v61, off, s[36:39], 0 offset:1408 ; 4-byte Folded Reload
	buffer_load_dword v62, off, s[36:39], 0 offset:1412 ; 4-byte Folded Reload
	buffer_load_dword v63, off, s[36:39], 0 offset:1416 ; 4-byte Folded Reload
	;; [unrolled: 9-line block ×5, first 2 shown]
	s_waitcnt vmcnt(0)
	v_mul_f64 v[54:55], v[62:63], v[78:79]
	v_fma_f64 v[139:140], v[60:61], v[76:77], v[54:55]
	v_mul_f64 v[54:55], v[62:63], v[76:77]
	buffer_load_dword v62, off, s[36:39], 0 offset:1484 ; 4-byte Folded Reload
	buffer_load_dword v63, off, s[36:39], 0 offset:1488 ; 4-byte Folded Reload
	;; [unrolled: 1-line block ×4, first 2 shown]
	v_fma_f64 v[141:142], v[60:61], v[78:79], -v[54:55]
	s_waitcnt vmcnt(0)
	v_mul_f64 v[54:55], v[64:65], v[82:83]
	v_mul_f64 v[60:61], v[64:65], v[80:81]
	v_fma_f64 v[54:55], v[62:63], v[80:81], v[54:55]
	v_fma_f64 v[143:144], v[62:63], v[82:83], -v[60:61]
	buffer_load_dword v62, off, s[36:39], 0 offset:1468 ; 4-byte Folded Reload
	buffer_load_dword v63, off, s[36:39], 0 offset:1472 ; 4-byte Folded Reload
	buffer_load_dword v64, off, s[36:39], 0 offset:1476 ; 4-byte Folded Reload
	buffer_load_dword v65, off, s[36:39], 0 offset:1480 ; 4-byte Folded Reload
	s_waitcnt vmcnt(0)
	v_mul_f64 v[60:61], v[64:65], v[86:87]
	v_fma_f64 v[145:146], v[62:63], v[84:85], v[60:61]
	v_mul_f64 v[60:61], v[64:65], v[84:85]
	v_fma_f64 v[147:148], v[62:63], v[86:87], -v[60:61]
	buffer_load_dword v62, off, s[36:39], 0 offset:1616 ; 4-byte Folded Reload
	buffer_load_dword v63, off, s[36:39], 0 offset:1620 ; 4-byte Folded Reload
	buffer_load_dword v64, off, s[36:39], 0 offset:1624 ; 4-byte Folded Reload
	buffer_load_dword v65, off, s[36:39], 0 offset:1628 ; 4-byte Folded Reload
	s_waitcnt vmcnt(0)
	v_mul_f64 v[60:61], v[64:65], v[90:91]
	v_fma_f64 v[149:150], v[62:63], v[88:89], v[60:61]
	v_mul_f64 v[60:61], v[64:65], v[88:89]
	;; [unrolled: 9-line block ×3, first 2 shown]
	buffer_load_dword v64, off, s[36:39], 0 offset:1696 ; 4-byte Folded Reload
	buffer_load_dword v65, off, s[36:39], 0 offset:1700 ; 4-byte Folded Reload
	;; [unrolled: 1-line block ×8, first 2 shown]
	v_fma_f64 v[60:61], v[62:63], v[94:95], -v[60:61]
	s_waitcnt vmcnt(4)
	v_mul_f64 v[62:63], v[66:67], v[98:99]
	v_fma_f64 v[72:73], v[64:65], v[96:97], v[62:63]
	v_mul_f64 v[62:63], v[66:67], v[96:97]
	v_fma_f64 v[74:75], v[64:65], v[98:99], -v[62:63]
	s_waitcnt vmcnt(0)
	v_mul_f64 v[62:63], v[78:79], v[102:103]
	v_mul_f64 v[64:65], v[78:79], v[100:101]
	buffer_load_dword v78, off, s[36:39], 0 offset:1648 ; 4-byte Folded Reload
	buffer_load_dword v79, off, s[36:39], 0 offset:1652 ; 4-byte Folded Reload
	;; [unrolled: 1-line block ×4, first 2 shown]
	v_fma_f64 v[62:63], v[76:77], v[100:101], v[62:63]
	v_fma_f64 v[64:65], v[76:77], v[102:103], -v[64:65]
	s_waitcnt vmcnt(0) lgkmcnt(13)
	v_mul_f64 v[66:67], v[80:81], v[106:107]
	v_fma_f64 v[76:77], v[78:79], v[104:105], v[66:67]
	v_mul_f64 v[66:67], v[80:81], v[104:105]
	buffer_load_dword v80, off, s[36:39], 0 offset:1632 ; 4-byte Folded Reload
	buffer_load_dword v81, off, s[36:39], 0 offset:1636 ; 4-byte Folded Reload
	;; [unrolled: 1-line block ×4, first 2 shown]
	v_fma_f64 v[78:79], v[78:79], v[106:107], -v[66:67]
	s_waitcnt vmcnt(0) lgkmcnt(12)
	v_mul_f64 v[66:67], v[82:83], v[110:111]
	v_mul_f64 v[70:71], v[82:83], v[108:109]
	buffer_load_dword v82, off, s[36:39], 0 offset:1748 ; 4-byte Folded Reload
	buffer_load_dword v83, off, s[36:39], 0 offset:1752 ; 4-byte Folded Reload
	;; [unrolled: 1-line block ×4, first 2 shown]
	v_fma_f64 v[66:67], v[80:81], v[108:109], v[66:67]
	v_fma_f64 v[70:71], v[80:81], v[110:111], -v[70:71]
	s_waitcnt lgkmcnt(10)
	v_mul_f64 v[80:81], v[222:223], v[114:115]
	v_fma_f64 v[104:105], v[220:221], v[112:113], v[80:81]
	v_mul_f64 v[80:81], v[222:223], v[112:113]
	v_fma_f64 v[100:101], v[220:221], v[114:115], -v[80:81]
	s_waitcnt lgkmcnt(9)
	v_mul_f64 v[80:81], v[242:243], v[118:119]
	v_fma_f64 v[110:111], v[240:241], v[116:117], v[80:81]
	v_mul_f64 v[80:81], v[242:243], v[116:117]
	v_fma_f64 v[114:115], v[240:241], v[118:119], -v[80:81]
	s_waitcnt vmcnt(0) lgkmcnt(8)
	v_mul_f64 v[80:81], v[84:85], v[50:51]
	v_fma_f64 v[102:103], v[82:83], v[48:49], v[80:81]
	v_mul_f64 v[48:49], v[84:85], v[48:49]
	v_fma_f64 v[106:107], v[82:83], v[50:51], -v[48:49]
	buffer_load_dword v80, off, s[36:39], 0 offset:1728 ; 4-byte Folded Reload
	buffer_load_dword v81, off, s[36:39], 0 offset:1732 ; 4-byte Folded Reload
	;; [unrolled: 1-line block ×4, first 2 shown]
	s_waitcnt vmcnt(0) lgkmcnt(7)
	v_mul_f64 v[48:49], v[82:83], v[46:47]
	v_fma_f64 v[116:117], v[80:81], v[44:45], v[48:49]
	v_mul_f64 v[44:45], v[82:83], v[44:45]
	v_fma_f64 v[118:119], v[80:81], v[46:47], -v[44:45]
	s_waitcnt lgkmcnt(6)
	v_mul_f64 v[44:45], v[214:215], v[42:43]
	v_fma_f64 v[108:109], v[212:213], v[40:41], v[44:45]
	v_mul_f64 v[40:41], v[214:215], v[40:41]
	v_fma_f64 v[112:113], v[212:213], v[42:43], -v[40:41]
	s_waitcnt lgkmcnt(4)
	;; [unrolled: 5-line block ×6, first 2 shown]
	v_mul_f64 v[20:21], v[170:171], v[18:19]
	v_fma_f64 v[92:93], v[168:169], v[16:17], v[20:21]
	v_mul_f64 v[16:17], v[170:171], v[16:17]
	v_fma_f64 v[94:95], v[168:169], v[18:19], -v[16:17]
	v_add_f64 v[16:17], v[12:13], v[125:126]
	v_add_f64 v[24:25], v[16:17], v[129:130]
	;; [unrolled: 1-line block ×3, first 2 shown]
	v_fma_f64 v[12:13], v[16:17], -0.5, v[12:13]
	v_add_f64 v[16:17], v[56:57], -v[131:132]
	v_fma_f64 v[26:27], v[16:17], s[4:5], v[12:13]
	v_fma_f64 v[30:31], v[16:17], s[2:3], v[12:13]
	v_add_f64 v[12:13], v[14:15], v[56:57]
	v_add_f64 v[34:35], v[12:13], v[131:132]
	;; [unrolled: 1-line block ×3, first 2 shown]
	v_fma_f64 v[12:13], v[12:13], -0.5, v[14:15]
	v_add_f64 v[14:15], v[125:126], -v[129:130]
	v_fma_f64 v[40:41], v[14:15], s[2:3], v[12:13]
	v_fma_f64 v[42:43], v[14:15], s[4:5], v[12:13]
	v_add_f64 v[12:13], v[121:122], v[58:59]
	v_add_f64 v[14:15], v[127:128], -v[135:136]
	v_add_f64 v[28:29], v[12:13], v[133:134]
	v_add_f64 v[12:13], v[58:59], v[133:134]
	v_fma_f64 v[12:13], v[12:13], -0.5, v[121:122]
	v_fma_f64 v[18:19], v[14:15], s[4:5], v[12:13]
	v_fma_f64 v[32:33], v[14:15], s[2:3], v[12:13]
	v_add_f64 v[12:13], v[123:124], v[127:128]
	v_add_f64 v[14:15], v[58:59], -v[133:134]
	v_add_f64 v[44:45], v[12:13], v[135:136]
	v_add_f64 v[12:13], v[127:128], v[135:136]
	v_fma_f64 v[12:13], v[12:13], -0.5, v[123:124]
	v_fma_f64 v[22:23], v[14:15], s[2:3], v[12:13]
	v_fma_f64 v[46:47], v[14:15], s[4:5], v[12:13]
	v_add_f64 v[12:13], v[24:25], v[28:29]
	v_mul_f64 v[14:15], v[22:23], s[4:5]
	v_mul_f64 v[22:23], v[22:23], 0.5
	v_fma_f64 v[48:49], v[18:19], 0.5, v[14:15]
	v_mul_f64 v[14:15], v[46:47], s[4:5]
	v_fma_f64 v[56:57], v[18:19], s[2:3], v[22:23]
	v_mul_f64 v[18:19], v[46:47], -0.5
	v_add_f64 v[20:21], v[26:27], v[48:49]
	v_fma_f64 v[50:51], v[32:33], -0.5, v[14:15]
	v_add_f64 v[22:23], v[40:41], v[56:57]
	v_fma_f64 v[46:47], v[32:33], s[2:3], v[18:19]
	v_add_f64 v[32:33], v[24:25], -v[28:29]
	v_add_f64 v[28:29], v[26:27], -v[48:49]
	v_add_f64 v[14:15], v[34:35], v[44:45]
	v_add_f64 v[34:35], v[34:35], -v[44:45]
	v_add_f64 v[16:17], v[30:31], v[50:51]
	v_add_f64 v[24:25], v[30:31], -v[50:51]
	v_add_f64 v[30:31], v[40:41], -v[56:57]
	v_add_f64 v[40:41], v[36:37], v[139:140]
	v_add_f64 v[18:19], v[42:43], v[46:47]
	v_add_f64 v[26:27], v[42:43], -v[46:47]
	v_add_f64 v[48:49], v[40:41], v[145:146]
	v_add_f64 v[40:41], v[139:140], v[145:146]
	v_fma_f64 v[36:37], v[40:41], -0.5, v[36:37]
	v_add_f64 v[40:41], v[141:142], -v[147:148]
	v_fma_f64 v[50:51], v[40:41], s[4:5], v[36:37]
	v_fma_f64 v[58:59], v[40:41], s[2:3], v[36:37]
	v_add_f64 v[36:37], v[38:39], v[141:142]
	v_add_f64 v[121:122], v[36:37], v[147:148]
	;; [unrolled: 1-line block ×3, first 2 shown]
	v_fma_f64 v[36:37], v[36:37], -0.5, v[38:39]
	v_add_f64 v[38:39], v[139:140], -v[145:146]
	v_fma_f64 v[123:124], v[38:39], s[2:3], v[36:37]
	v_fma_f64 v[125:126], v[38:39], s[4:5], v[36:37]
	v_add_f64 v[36:37], v[137:138], v[54:55]
	v_add_f64 v[38:39], v[143:144], -v[151:152]
	v_add_f64 v[56:57], v[36:37], v[149:150]
	v_add_f64 v[36:37], v[54:55], v[149:150]
	v_fma_f64 v[36:37], v[36:37], -0.5, v[137:138]
	v_fma_f64 v[42:43], v[38:39], s[4:5], v[36:37]
	v_fma_f64 v[127:128], v[38:39], s[2:3], v[36:37]
	v_add_f64 v[36:37], v[52:53], v[143:144]
	v_add_f64 v[38:39], v[54:55], -v[149:150]
	v_add_f64 v[129:130], v[36:37], v[151:152]
	v_add_f64 v[36:37], v[143:144], v[151:152]
	v_fma_f64 v[36:37], v[36:37], -0.5, v[52:53]
	v_fma_f64 v[46:47], v[38:39], s[2:3], v[36:37]
	v_fma_f64 v[52:53], v[38:39], s[4:5], v[36:37]
	v_add_f64 v[36:37], v[48:49], v[56:57]
	v_add_f64 v[56:57], v[48:49], -v[56:57]
	v_mul_f64 v[38:39], v[46:47], s[4:5]
	v_mul_f64 v[46:47], v[46:47], 0.5
	v_fma_f64 v[54:55], v[42:43], 0.5, v[38:39]
	v_mul_f64 v[38:39], v[52:53], s[4:5]
	v_fma_f64 v[133:134], v[42:43], s[2:3], v[46:47]
	v_mul_f64 v[42:43], v[52:53], -0.5
	v_add_f64 v[44:45], v[50:51], v[54:55]
	v_fma_f64 v[131:132], v[127:128], -0.5, v[38:39]
	v_add_f64 v[46:47], v[123:124], v[133:134]
	v_add_f64 v[52:53], v[50:51], -v[54:55]
	v_add_f64 v[54:55], v[123:124], -v[133:134]
	v_add_f64 v[123:124], v[72:73], v[76:77]
	v_add_f64 v[38:39], v[121:122], v[129:130]
	v_fma_f64 v[127:128], v[127:128], s[2:3], v[42:43]
	v_add_f64 v[40:41], v[58:59], v[131:132]
	v_add_f64 v[48:49], v[58:59], -v[131:132]
	v_add_f64 v[58:59], v[121:122], -v[129:130]
	v_add_f64 v[121:122], v[8:9], v[72:73]
	v_fma_f64 v[8:9], v[123:124], -0.5, v[8:9]
	v_add_f64 v[123:124], v[74:75], -v[78:79]
	v_add_f64 v[42:43], v[125:126], v[127:128]
	v_add_f64 v[50:51], v[125:126], -v[127:128]
	v_add_f64 v[121:122], v[121:122], v[76:77]
	v_fma_f64 v[125:126], v[123:124], s[4:5], v[8:9]
	v_fma_f64 v[123:124], v[123:124], s[2:3], v[8:9]
	v_add_f64 v[8:9], v[10:11], v[74:75]
	v_add_f64 v[127:128], v[8:9], v[78:79]
	;; [unrolled: 1-line block ×3, first 2 shown]
	v_fma_f64 v[8:9], v[8:9], -0.5, v[10:11]
	v_add_f64 v[10:11], v[72:73], -v[76:77]
	v_fma_f64 v[74:75], v[10:11], s[2:3], v[8:9]
	v_fma_f64 v[129:130], v[10:11], s[4:5], v[8:9]
	v_add_f64 v[8:9], v[68:69], v[62:63]
	v_add_f64 v[10:11], v[64:65], -v[70:71]
	v_add_f64 v[72:73], v[8:9], v[66:67]
	v_add_f64 v[8:9], v[62:63], v[66:67]
	v_fma_f64 v[8:9], v[8:9], -0.5, v[68:69]
	v_fma_f64 v[68:69], v[10:11], s[4:5], v[8:9]
	v_fma_f64 v[76:77], v[10:11], s[2:3], v[8:9]
	v_add_f64 v[8:9], v[60:61], v[64:65]
	v_add_f64 v[10:11], v[62:63], -v[66:67]
	v_add_f64 v[78:79], v[8:9], v[70:71]
	v_add_f64 v[8:9], v[64:65], v[70:71]
	v_fma_f64 v[8:9], v[8:9], -0.5, v[60:61]
	v_fma_f64 v[62:63], v[10:11], s[2:3], v[8:9]
	v_fma_f64 v[66:67], v[10:11], s[4:5], v[8:9]
	v_add_f64 v[8:9], v[121:122], v[72:73]
	v_mul_f64 v[10:11], v[62:63], s[4:5]
	v_mul_f64 v[62:63], v[62:63], 0.5
	v_fma_f64 v[70:71], v[68:69], 0.5, v[10:11]
	v_mul_f64 v[10:11], v[66:67], s[4:5]
	v_fma_f64 v[133:134], v[68:69], s[2:3], v[62:63]
	v_mul_f64 v[66:67], v[66:67], -0.5
	v_add_f64 v[60:61], v[125:126], v[70:71]
	v_fma_f64 v[131:132], v[76:77], -0.5, v[10:11]
	v_add_f64 v[10:11], v[127:128], v[78:79]
	v_fma_f64 v[135:136], v[76:77], s[2:3], v[66:67]
	v_add_f64 v[76:77], v[121:122], -v[72:73]
	v_add_f64 v[121:122], v[4:5], v[110:111]
	v_add_f64 v[72:73], v[125:126], -v[70:71]
	v_add_f64 v[78:79], v[127:128], -v[78:79]
	v_add_f64 v[62:63], v[74:75], v[133:134]
	v_add_f64 v[64:65], v[123:124], v[131:132]
	v_add_f64 v[68:69], v[123:124], -v[131:132]
	v_add_f64 v[123:124], v[110:111], v[116:117]
	v_add_f64 v[66:67], v[129:130], v[135:136]
	v_add_f64 v[70:71], v[129:130], -v[135:136]
	v_add_f64 v[121:122], v[121:122], v[116:117]
	v_add_f64 v[74:75], v[74:75], -v[133:134]
	v_fma_f64 v[4:5], v[123:124], -0.5, v[4:5]
	v_add_f64 v[123:124], v[114:115], -v[118:119]
	v_fma_f64 v[125:126], v[123:124], s[4:5], v[4:5]
	v_fma_f64 v[123:124], v[123:124], s[2:3], v[4:5]
	v_add_f64 v[4:5], v[6:7], v[114:115]
	v_add_f64 v[127:128], v[4:5], v[118:119]
	;; [unrolled: 1-line block ×3, first 2 shown]
	v_fma_f64 v[4:5], v[4:5], -0.5, v[6:7]
	v_add_f64 v[6:7], v[110:111], -v[116:117]
	v_fma_f64 v[114:115], v[6:7], s[2:3], v[4:5]
	v_fma_f64 v[118:119], v[6:7], s[4:5], v[4:5]
	v_add_f64 v[4:5], v[104:105], v[102:103]
	v_add_f64 v[6:7], v[106:107], -v[112:113]
	v_add_f64 v[110:111], v[4:5], v[108:109]
	v_add_f64 v[4:5], v[102:103], v[108:109]
	v_fma_f64 v[4:5], v[4:5], -0.5, v[104:105]
	v_fma_f64 v[116:117], v[6:7], s[4:5], v[4:5]
	v_fma_f64 v[129:130], v[6:7], s[2:3], v[4:5]
	v_add_f64 v[4:5], v[100:101], v[106:107]
	v_add_f64 v[6:7], v[102:103], -v[108:109]
	v_add_f64 v[108:109], v[121:122], -v[110:111]
	v_add_f64 v[131:132], v[4:5], v[112:113]
	v_add_f64 v[4:5], v[106:107], v[112:113]
	v_fma_f64 v[4:5], v[4:5], -0.5, v[100:101]
	v_fma_f64 v[102:103], v[6:7], s[2:3], v[4:5]
	v_fma_f64 v[106:107], v[6:7], s[4:5], v[4:5]
	v_add_f64 v[4:5], v[121:122], v[110:111]
	v_add_f64 v[121:122], v[0:1], v[88:89]
	v_add_f64 v[110:111], v[127:128], -v[131:132]
	v_mul_f64 v[6:7], v[102:103], s[4:5]
	v_mul_f64 v[102:103], v[102:103], 0.5
	v_add_f64 v[121:122], v[121:122], v[96:97]
	v_fma_f64 v[112:113], v[116:117], 0.5, v[6:7]
	v_mul_f64 v[6:7], v[106:107], s[4:5]
	v_fma_f64 v[135:136], v[116:117], s[2:3], v[102:103]
	v_mul_f64 v[106:107], v[106:107], -0.5
	v_add_f64 v[100:101], v[125:126], v[112:113]
	v_fma_f64 v[133:134], v[129:130], -0.5, v[6:7]
	v_add_f64 v[112:113], v[125:126], -v[112:113]
	v_add_f64 v[6:7], v[127:128], v[131:132]
	v_fma_f64 v[129:130], v[129:130], s[2:3], v[106:107]
	v_add_f64 v[102:103], v[114:115], v[135:136]
	v_add_f64 v[114:115], v[114:115], -v[135:136]
	v_add_f64 v[104:105], v[123:124], v[133:134]
	v_add_f64 v[116:117], v[123:124], -v[133:134]
	v_add_f64 v[123:124], v[88:89], v[96:97]
	v_add_f64 v[106:107], v[118:119], v[129:130]
	v_add_f64 v[118:119], v[118:119], -v[129:130]
	v_fma_f64 v[0:1], v[123:124], -0.5, v[0:1]
	v_add_f64 v[123:124], v[90:91], -v[98:99]
	v_fma_f64 v[125:126], v[123:124], s[4:5], v[0:1]
	v_fma_f64 v[123:124], v[123:124], s[2:3], v[0:1]
	v_add_f64 v[0:1], v[2:3], v[90:91]
	v_add_f64 v[127:128], v[0:1], v[98:99]
	;; [unrolled: 1-line block ×3, first 2 shown]
	v_fma_f64 v[0:1], v[0:1], -0.5, v[2:3]
	v_add_f64 v[2:3], v[88:89], -v[96:97]
	v_fma_f64 v[98:99], v[2:3], s[2:3], v[0:1]
	v_fma_f64 v[129:130], v[2:3], s[4:5], v[0:1]
	v_add_f64 v[0:1], v[82:83], v[84:85]
	v_add_f64 v[2:3], v[86:87], -v[94:95]
	v_add_f64 v[88:89], v[0:1], v[92:93]
	v_add_f64 v[0:1], v[84:85], v[92:93]
	v_fma_f64 v[0:1], v[0:1], -0.5, v[82:83]
	v_fma_f64 v[82:83], v[2:3], s[4:5], v[0:1]
	v_fma_f64 v[90:91], v[2:3], s[2:3], v[0:1]
	v_add_f64 v[0:1], v[80:81], v[86:87]
	v_add_f64 v[2:3], v[84:85], -v[92:93]
	v_add_f64 v[131:132], v[0:1], v[94:95]
	v_add_f64 v[0:1], v[86:87], v[94:95]
	v_fma_f64 v[0:1], v[0:1], -0.5, v[80:81]
	v_fma_f64 v[86:87], v[2:3], s[2:3], v[0:1]
	v_fma_f64 v[92:93], v[2:3], s[4:5], v[0:1]
	v_add_f64 v[0:1], v[121:122], v[88:89]
	v_add_f64 v[88:89], v[121:122], -v[88:89]
	v_mul_f64 v[2:3], v[86:87], s[4:5]
	v_mul_f64 v[86:87], v[86:87], 0.5
	v_fma_f64 v[94:95], v[82:83], 0.5, v[2:3]
	v_mul_f64 v[2:3], v[92:93], s[4:5]
	v_fma_f64 v[133:134], v[82:83], s[2:3], v[86:87]
	v_mul_f64 v[86:87], v[92:93], -0.5
	v_add_f64 v[80:81], v[125:126], v[94:95]
	v_fma_f64 v[96:97], v[90:91], -0.5, v[2:3]
	v_add_f64 v[2:3], v[127:128], v[131:132]
	v_fma_f64 v[135:136], v[90:91], s[2:3], v[86:87]
	v_add_f64 v[82:83], v[98:99], v[133:134]
	v_add_f64 v[92:93], v[125:126], -v[94:95]
	v_add_f64 v[90:91], v[127:128], -v[131:132]
	v_add_f64 v[94:95], v[98:99], -v[133:134]
	s_mov_b32 s2, 0x30abee4d
	v_add_f64 v[84:85], v[123:124], v[96:97]
	v_add_f64 v[96:97], v[123:124], -v[96:97]
	v_add_f64 v[86:87], v[129:130], v[135:136]
	v_add_f64 v[98:99], v[129:130], -v[135:136]
	ds_write_b128 v120, v[12:15]
	ds_write_b128 v120, v[20:23] offset:8640
	ds_write_b128 v120, v[16:19] offset:17280
	;; [unrolled: 1-line block ×29, first 2 shown]
	s_waitcnt lgkmcnt(0)
	s_barrier
	ds_read_b128 v[0:3], v120
	buffer_load_dword v6, off, s[36:39], 0 offset:24 ; 4-byte Folded Reload
	buffer_load_dword v7, off, s[36:39], 0 offset:28 ; 4-byte Folded Reload
	buffer_load_dword v8, off, s[36:39], 0 offset:32 ; 4-byte Folded Reload
	buffer_load_dword v9, off, s[36:39], 0 offset:36 ; 4-byte Folded Reload
	s_mov_b32 s3, 0x3f343a27
	s_waitcnt vmcnt(0) lgkmcnt(0)
	v_mul_f64 v[4:5], v[8:9], v[2:3]
	v_fma_f64 v[4:5], v[6:7], v[0:1], v[4:5]
	v_mul_f64 v[0:1], v[8:9], v[0:1]
	v_mov_b32_e32 v8, s13
	v_mul_f64 v[4:5], v[4:5], s[2:3]
	v_fma_f64 v[0:1], v[6:7], v[2:3], -v[0:1]
	v_mov_b32_e32 v2, v160
	v_mul_f64 v[6:7], v[0:1], s[2:3]
	v_mad_u64_u32 v[0:1], s[4:5], s0, v2, 0
	v_mad_u64_u32 v[1:2], s[4:5], s1, v2, v[1:2]
	buffer_load_dword v2, off, s[36:39], 0  ; 4-byte Folded Reload
	buffer_load_dword v3, off, s[36:39], 0 offset:4 ; 4-byte Folded Reload
	s_mul_i32 s4, s1, 0x4380
	v_lshlrev_b64 v[0:1], 4, v[0:1]
	s_mul_hi_u32 s5, s0, 0x4380
	s_add_i32 s4, s5, s4
	s_mul_i32 s5, s0, 0x4380
	s_mul_i32 s1, s1, 0xffff7fc0
	s_add_i32 s1, s6, s1
	s_mul_i32 s0, s0, 0xffff7fc0
	s_waitcnt vmcnt(0)
	v_lshlrev_b64 v[2:3], 4, v[2:3]
	v_add_co_u32_e32 v2, vcc, s12, v2
	v_addc_co_u32_e32 v3, vcc, v8, v3, vcc
	v_add_co_u32_e32 v8, vcc, v2, v0
	v_addc_co_u32_e32 v9, vcc, v3, v1, vcc
	global_store_dwordx4 v[8:9], v[4:7], off
	ds_read_b128 v[0:3], v120 offset:17280
	buffer_load_dword v10, off, s[36:39], 0 offset:40 ; 4-byte Folded Reload
	buffer_load_dword v11, off, s[36:39], 0 offset:44 ; 4-byte Folded Reload
	buffer_load_dword v12, off, s[36:39], 0 offset:48 ; 4-byte Folded Reload
	buffer_load_dword v13, off, s[36:39], 0 offset:52 ; 4-byte Folded Reload
	v_add_co_u32_e32 v8, vcc, s5, v8
	s_waitcnt vmcnt(0) lgkmcnt(0)
	v_mul_f64 v[4:5], v[12:13], v[2:3]
	v_fma_f64 v[4:5], v[10:11], v[0:1], v[4:5]
	v_mul_f64 v[0:1], v[12:13], v[0:1]
	v_mul_f64 v[4:5], v[4:5], s[2:3]
	v_fma_f64 v[0:1], v[10:11], v[2:3], -v[0:1]
	v_mul_f64 v[6:7], v[0:1], s[2:3]
	v_mov_b32_e32 v0, s4
	v_addc_co_u32_e32 v9, vcc, v9, v0, vcc
	ds_read_b128 v[0:3], v120 offset:34560
	global_store_dwordx4 v[8:9], v[4:7], off
	buffer_load_dword v10, off, s[36:39], 0 offset:56 ; 4-byte Folded Reload
	buffer_load_dword v11, off, s[36:39], 0 offset:60 ; 4-byte Folded Reload
	buffer_load_dword v12, off, s[36:39], 0 offset:64 ; 4-byte Folded Reload
	buffer_load_dword v13, off, s[36:39], 0 offset:68 ; 4-byte Folded Reload
	v_add_co_u32_e32 v8, vcc, s5, v8
	s_waitcnt vmcnt(0) lgkmcnt(0)
	v_mul_f64 v[4:5], v[12:13], v[2:3]
	v_fma_f64 v[4:5], v[10:11], v[0:1], v[4:5]
	v_mul_f64 v[0:1], v[12:13], v[0:1]
	v_mul_f64 v[4:5], v[4:5], s[2:3]
	v_fma_f64 v[0:1], v[10:11], v[2:3], -v[0:1]
	v_mul_f64 v[6:7], v[0:1], s[2:3]
	v_mov_b32_e32 v0, s4
	v_addc_co_u32_e32 v9, vcc, v9, v0, vcc
	ds_read_b128 v[0:3], v120 offset:1728
	global_store_dwordx4 v[8:9], v[4:7], off
	;; [unrolled: 16-line block ×27, first 2 shown]
	buffer_load_dword v10, off, s[36:39], 0 offset:472 ; 4-byte Folded Reload
	buffer_load_dword v11, off, s[36:39], 0 offset:476 ; 4-byte Folded Reload
	;; [unrolled: 1-line block ×4, first 2 shown]
	s_waitcnt vmcnt(0) lgkmcnt(0)
	v_mul_f64 v[4:5], v[12:13], v[2:3]
	v_fma_f64 v[4:5], v[10:11], v[0:1], v[4:5]
	v_mul_f64 v[0:1], v[12:13], v[0:1]
	v_mul_f64 v[4:5], v[4:5], s[2:3]
	v_fma_f64 v[0:1], v[10:11], v[2:3], -v[0:1]
	v_mul_f64 v[6:7], v[0:1], s[2:3]
	v_add_co_u32_e32 v0, vcc, s5, v8
	v_mov_b32_e32 v1, s4
	v_addc_co_u32_e32 v1, vcc, v9, v1, vcc
	global_store_dwordx4 v[0:1], v[4:7], off
	ds_read_b128 v[2:5], v120 offset:50112
	buffer_load_dword v8, off, s[36:39], 0 offset:8 ; 4-byte Folded Reload
	buffer_load_dword v9, off, s[36:39], 0 offset:12 ; 4-byte Folded Reload
	;; [unrolled: 1-line block ×4, first 2 shown]
	v_add_co_u32_e32 v0, vcc, s5, v0
	s_waitcnt vmcnt(0) lgkmcnt(0)
	v_mul_f64 v[6:7], v[10:11], v[4:5]
	v_fma_f64 v[6:7], v[8:9], v[2:3], v[6:7]
	v_mul_f64 v[2:3], v[10:11], v[2:3]
	v_mul_f64 v[6:7], v[6:7], s[2:3]
	v_fma_f64 v[2:3], v[8:9], v[4:5], -v[2:3]
	v_mul_f64 v[8:9], v[2:3], s[2:3]
	v_mov_b32_e32 v2, s4
	v_addc_co_u32_e32 v1, vcc, v1, v2, vcc
	global_store_dwordx4 v[0:1], v[6:9], off
.LBB0_2:
	s_endpgm
	.section	.rodata,"a",@progbits
	.p2align	6, 0x0
	.amdhsa_kernel bluestein_single_back_len3240_dim1_dp_op_CI_CI
		.amdhsa_group_segment_fixed_size 51840
		.amdhsa_private_segment_fixed_size 1776
		.amdhsa_kernarg_size 104
		.amdhsa_user_sgpr_count 6
		.amdhsa_user_sgpr_private_segment_buffer 1
		.amdhsa_user_sgpr_dispatch_ptr 0
		.amdhsa_user_sgpr_queue_ptr 0
		.amdhsa_user_sgpr_kernarg_segment_ptr 1
		.amdhsa_user_sgpr_dispatch_id 0
		.amdhsa_user_sgpr_flat_scratch_init 0
		.amdhsa_user_sgpr_private_segment_size 0
		.amdhsa_uses_dynamic_stack 0
		.amdhsa_system_sgpr_private_segment_wavefront_offset 1
		.amdhsa_system_sgpr_workgroup_id_x 1
		.amdhsa_system_sgpr_workgroup_id_y 0
		.amdhsa_system_sgpr_workgroup_id_z 0
		.amdhsa_system_sgpr_workgroup_info 0
		.amdhsa_system_vgpr_workitem_id 0
		.amdhsa_next_free_vgpr 256
		.amdhsa_next_free_sgpr 40
		.amdhsa_reserve_vcc 1
		.amdhsa_reserve_flat_scratch 0
		.amdhsa_float_round_mode_32 0
		.amdhsa_float_round_mode_16_64 0
		.amdhsa_float_denorm_mode_32 3
		.amdhsa_float_denorm_mode_16_64 3
		.amdhsa_dx10_clamp 1
		.amdhsa_ieee_mode 1
		.amdhsa_fp16_overflow 0
		.amdhsa_exception_fp_ieee_invalid_op 0
		.amdhsa_exception_fp_denorm_src 0
		.amdhsa_exception_fp_ieee_div_zero 0
		.amdhsa_exception_fp_ieee_overflow 0
		.amdhsa_exception_fp_ieee_underflow 0
		.amdhsa_exception_fp_ieee_inexact 0
		.amdhsa_exception_int_div_zero 0
	.end_amdhsa_kernel
	.text
.Lfunc_end0:
	.size	bluestein_single_back_len3240_dim1_dp_op_CI_CI, .Lfunc_end0-bluestein_single_back_len3240_dim1_dp_op_CI_CI
                                        ; -- End function
	.section	.AMDGPU.csdata,"",@progbits
; Kernel info:
; codeLenInByte = 48060
; NumSgprs: 44
; NumVgprs: 256
; ScratchSize: 1776
; MemoryBound: 0
; FloatMode: 240
; IeeeMode: 1
; LDSByteSize: 51840 bytes/workgroup (compile time only)
; SGPRBlocks: 5
; VGPRBlocks: 63
; NumSGPRsForWavesPerEU: 44
; NumVGPRsForWavesPerEU: 256
; Occupancy: 1
; WaveLimiterHint : 1
; COMPUTE_PGM_RSRC2:SCRATCH_EN: 1
; COMPUTE_PGM_RSRC2:USER_SGPR: 6
; COMPUTE_PGM_RSRC2:TRAP_HANDLER: 0
; COMPUTE_PGM_RSRC2:TGID_X_EN: 1
; COMPUTE_PGM_RSRC2:TGID_Y_EN: 0
; COMPUTE_PGM_RSRC2:TGID_Z_EN: 0
; COMPUTE_PGM_RSRC2:TIDIG_COMP_CNT: 0
	.type	__hip_cuid_265e9519df8b6fde,@object ; @__hip_cuid_265e9519df8b6fde
	.section	.bss,"aw",@nobits
	.globl	__hip_cuid_265e9519df8b6fde
__hip_cuid_265e9519df8b6fde:
	.byte	0                               ; 0x0
	.size	__hip_cuid_265e9519df8b6fde, 1

	.ident	"AMD clang version 19.0.0git (https://github.com/RadeonOpenCompute/llvm-project roc-6.4.0 25133 c7fe45cf4b819c5991fe208aaa96edf142730f1d)"
	.section	".note.GNU-stack","",@progbits
	.addrsig
	.addrsig_sym __hip_cuid_265e9519df8b6fde
	.amdgpu_metadata
---
amdhsa.kernels:
  - .args:
      - .actual_access:  read_only
        .address_space:  global
        .offset:         0
        .size:           8
        .value_kind:     global_buffer
      - .actual_access:  read_only
        .address_space:  global
        .offset:         8
        .size:           8
        .value_kind:     global_buffer
      - .actual_access:  read_only
        .address_space:  global
        .offset:         16
        .size:           8
        .value_kind:     global_buffer
      - .actual_access:  read_only
        .address_space:  global
        .offset:         24
        .size:           8
        .value_kind:     global_buffer
      - .actual_access:  read_only
        .address_space:  global
        .offset:         32
        .size:           8
        .value_kind:     global_buffer
      - .offset:         40
        .size:           8
        .value_kind:     by_value
      - .address_space:  global
        .offset:         48
        .size:           8
        .value_kind:     global_buffer
      - .address_space:  global
        .offset:         56
        .size:           8
        .value_kind:     global_buffer
      - .address_space:  global
        .offset:         64
        .size:           8
        .value_kind:     global_buffer
      - .address_space:  global
        .offset:         72
        .size:           8
        .value_kind:     global_buffer
      - .offset:         80
        .size:           4
        .value_kind:     by_value
      - .address_space:  global
        .offset:         88
        .size:           8
        .value_kind:     global_buffer
      - .address_space:  global
        .offset:         96
        .size:           8
        .value_kind:     global_buffer
    .group_segment_fixed_size: 51840
    .kernarg_segment_align: 8
    .kernarg_segment_size: 104
    .language:       OpenCL C
    .language_version:
      - 2
      - 0
    .max_flat_workgroup_size: 108
    .name:           bluestein_single_back_len3240_dim1_dp_op_CI_CI
    .private_segment_fixed_size: 1776
    .sgpr_count:     44
    .sgpr_spill_count: 0
    .symbol:         bluestein_single_back_len3240_dim1_dp_op_CI_CI.kd
    .uniform_work_group_size: 1
    .uses_dynamic_stack: false
    .vgpr_count:     256
    .vgpr_spill_count: 443
    .wavefront_size: 64
amdhsa.target:   amdgcn-amd-amdhsa--gfx906
amdhsa.version:
  - 1
  - 2
...

	.end_amdgpu_metadata
